;; amdgpu-corpus repo=ROCm/rocBLAS kind=compiled arch=gfx1250 opt=O3
	.amdgcn_target "amdgcn-amd-amdhsa--gfx1250"
	.amdhsa_code_object_version 6
	.section	.text._ZL23rocblas_syr_kernel_inc1ILb1ELi1024EfPKfS1_PfEvimT2_lT3_llT4_llli,"axG",@progbits,_ZL23rocblas_syr_kernel_inc1ILb1ELi1024EfPKfS1_PfEvimT2_lT3_llT4_llli,comdat
	.globl	_ZL23rocblas_syr_kernel_inc1ILb1ELi1024EfPKfS1_PfEvimT2_lT3_llT4_llli ; -- Begin function _ZL23rocblas_syr_kernel_inc1ILb1ELi1024EfPKfS1_PfEvimT2_lT3_llT4_llli
	.p2align	8
	.type	_ZL23rocblas_syr_kernel_inc1ILb1ELi1024EfPKfS1_PfEvimT2_lT3_llT4_llli,@function
_ZL23rocblas_syr_kernel_inc1ILb1ELi1024EfPKfS1_PfEvimT2_lT3_llT4_llli: ; @_ZL23rocblas_syr_kernel_inc1ILb1ELi1024EfPKfS1_PfEvimT2_lT3_llT4_llli
; %bb.0:
	s_load_b32 s24, s[0:1], 0x58
	s_bfe_u32 s2, ttmp6, 0x40014
	s_lshr_b32 s3, ttmp7, 16
	s_add_co_i32 s2, s2, 1
	s_bfe_u32 s4, ttmp6, 0x40008
	s_mul_i32 s2, s3, s2
	s_getreg_b32 s25, hwreg(HW_REG_IB_STS2, 6, 4)
	s_add_co_i32 s4, s4, s2
	s_cmp_eq_u32 s25, 0
	s_cselect_b32 s2, s3, s4
	s_mov_b32 s3, 0
	s_wait_kmcnt 0x0
	s_cmp_ge_u32 s2, s24
	s_cbranch_scc1 .LBB0_7
; %bb.1:
	s_clause 0x1
	s_load_b512 s[4:19], s[0:1], 0x8
	s_load_b128 s[20:23], s[0:1], 0x48
	s_bfe_u32 s26, ttmp6, 0x4000c
	s_and_b32 s27, ttmp6, 15
	s_add_co_i32 s26, s26, 1
	v_mov_b32_e32 v1, 0
	s_mul_i32 s26, ttmp9, s26
	s_wait_xcnt 0x0
	s_add_nc_u64 s[0:1], s[0:1], 0x60
	s_add_co_i32 s28, s27, s26
	s_wait_kmcnt 0x0
	s_lshl_b64 s[18:19], s[18:19], 2
	s_lshl_b64 s[26:27], s[12:13], 2
	s_cmp_eq_u32 s25, 0
	s_add_nc_u64 s[12:13], s[16:17], s[18:19]
	s_add_nc_u64 s[10:11], s[10:11], s[26:27]
	s_cselect_b32 s16, ttmp9, s28
	s_branch .LBB0_4
.LBB0_2:                                ;   in Loop: Header=BB0_4 Depth=1
	s_wait_xcnt 0x0
	s_or_b32 exec_lo, exec_lo, s17
.LBB0_3:                                ;   in Loop: Header=BB0_4 Depth=1
	s_add_co_i32 s2, s2, 0x10000
	s_delay_alu instid0(SALU_CYCLE_1)
	s_cmp_lt_u32 s2, s24
	s_cbranch_scc0 .LBB0_7
.LBB0_4:                                ; =>This Inner Loop Header: Depth=1
	s_wait_xcnt 0x0
	s_mul_u64 s[18:19], s[8:9], s[2:3]
	s_delay_alu instid0(SALU_CYCLE_1) | instskip(NEXT) | instid1(SALU_CYCLE_1)
	s_lshl_b64 s[18:19], s[18:19], 2
	s_add_nc_u64 s[18:19], s[6:7], s[18:19]
	global_load_b32 v4, v1, s[18:19]
	s_wait_loadcnt 0x0
	v_cmp_eq_f32_e32 vcc_lo, 0, v4
	s_cbranch_vccnz .LBB0_3
; %bb.5:                                ;   in Loop: Header=BB0_4 Depth=1
	s_load_b32 s17, s[0:1], 0xc
	s_wait_kmcnt 0x0
	s_and_b32 s17, s17, 0xffff
	s_delay_alu instid0(SALU_CYCLE_1) | instskip(SKIP_1) | instid1(VALU_DEP_1)
	v_mad_nc_u64_u32 v[2:3], s17, s16, v[0:1]
	s_mov_b32 s17, exec_lo
	v_cmpx_gt_u64_e64 s[4:5], v[2:3]
	s_cbranch_execz .LBB0_2
; %bb.6:                                ;   in Loop: Header=BB0_4 Depth=1
	v_lshlrev_b64_e32 v[6:7], 3, v[2:3]
	s_mul_u64 s[18:19], s[22:23], s[2:3]
	s_mul_u64 s[26:27], s[14:15], s[2:3]
	s_lshl_b64 s[18:19], s[18:19], 2
	s_delay_alu instid0(SALU_CYCLE_1) | instskip(NEXT) | instid1(VALU_DEP_1)
	s_add_nc_u64 s[18:19], s[12:13], s[18:19]
	v_cvt_f64_u32_e32 v[8:9], v7
	s_delay_alu instid0(VALU_DEP_2) | instskip(NEXT) | instid1(VALU_DEP_1)
	v_or_b32_e32 v3, 1, v6
	v_cvt_f64_u32_e32 v[6:7], v3
	s_delay_alu instid0(VALU_DEP_3) | instskip(NEXT) | instid1(VALU_DEP_1)
	v_ldexp_f64 v[8:9], v[8:9], 32
	v_add_f64_e32 v[6:7], v[8:9], v[6:7]
	s_delay_alu instid0(VALU_DEP_1) | instskip(SKIP_1) | instid1(VALU_DEP_1)
	v_cmp_gt_f64_e32 vcc_lo, 0x10000000, v[6:7]
	v_cndmask_b32_e64 v3, 0, 0x100, vcc_lo
	v_ldexp_f64 v[6:7], v[6:7], v3
	v_cndmask_b32_e64 v3, 0, 0xffffff80, vcc_lo
	s_delay_alu instid0(VALU_DEP_2) | instskip(SKIP_1) | instid1(TRANS32_DEP_1)
	v_rsq_f64_e32 v[8:9], v[6:7]
	v_cmp_class_f64_e64 vcc_lo, v[6:7], 0x260
	v_mul_f64_e32 v[10:11], v[6:7], v[8:9]
	v_mul_f64_e32 v[8:9], 0.5, v[8:9]
	s_delay_alu instid0(VALU_DEP_1) | instskip(NEXT) | instid1(VALU_DEP_1)
	v_fma_f64 v[12:13], -v[8:9], v[10:11], 0.5
	v_fmac_f64_e32 v[10:11], v[10:11], v[12:13]
	v_fmac_f64_e32 v[8:9], v[8:9], v[12:13]
	s_delay_alu instid0(VALU_DEP_2) | instskip(NEXT) | instid1(VALU_DEP_1)
	v_fma_f64 v[12:13], -v[10:11], v[10:11], v[6:7]
	v_fmac_f64_e32 v[10:11], v[12:13], v[8:9]
	s_delay_alu instid0(VALU_DEP_1) | instskip(NEXT) | instid1(VALU_DEP_1)
	v_fma_f64 v[12:13], -v[10:11], v[10:11], v[6:7]
	v_fmac_f64_e32 v[10:11], v[12:13], v[8:9]
	s_delay_alu instid0(VALU_DEP_1) | instskip(NEXT) | instid1(VALU_DEP_1)
	v_ldexp_f64 v[8:9], v[10:11], v3
	v_dual_cndmask_b32 v7, v9, v7 :: v_dual_cndmask_b32 v6, v8, v6
	s_delay_alu instid0(VALU_DEP_1) | instskip(NEXT) | instid1(VALU_DEP_1)
	v_add_f64_e32 v[6:7], -1.0, v[6:7]
	v_mul_f64_e32 v[6:7], 0.5, v[6:7]
	s_delay_alu instid0(VALU_DEP_1) | instskip(NEXT) | instid1(VALU_DEP_1)
	v_cvt_i32_f64_e32 v6, v[6:7]
	v_ashrrev_i32_e32 v7, 31, v6
	v_mad_u32 v3, v6, v6, v6
	s_delay_alu instid0(VALU_DEP_2) | instskip(NEXT) | instid1(VALU_DEP_2)
	v_mul_u64_e32 v[8:9], s[20:21], v[6:7]
	v_lshrrev_b32_e32 v5, 31, v3
	s_delay_alu instid0(VALU_DEP_1) | instskip(NEXT) | instid1(VALU_DEP_1)
	v_add_nc_u32_e32 v3, v3, v5
	v_ashrrev_i32_e32 v3, 1, v3
	s_delay_alu instid0(VALU_DEP_1) | instskip(NEXT) | instid1(VALU_DEP_1)
	v_sub_nc_u32_e32 v2, v2, v3
	v_ashrrev_i32_e32 v3, 31, v2
	v_lshl_add_u64 v[8:9], v[8:9], 2, s[18:19]
	s_lshl_b64 s[18:19], s[26:27], 2
	s_delay_alu instid0(SALU_CYCLE_1) | instskip(NEXT) | instid1(VALU_DEP_1)
	s_add_nc_u64 s[18:19], s[10:11], s[18:19]
	v_lshl_add_u64 v[8:9], v[2:3], 2, v[8:9]
	s_clause 0x1
	global_load_b32 v3, v2, s[18:19] scale_offset
	global_load_b32 v5, v6, s[18:19] scale_offset
	global_load_b32 v7, v[8:9], off
	s_wait_loadcnt 0x2
	s_wait_xcnt 0x2
	v_mul_f32_e32 v2, v4, v3
	s_wait_loadcnt 0x0
	s_delay_alu instid0(VALU_DEP_1)
	v_fmac_f32_e32 v7, v2, v5
	global_store_b32 v[8:9], v7, off
	s_branch .LBB0_2
.LBB0_7:
	s_endpgm
	.section	.rodata,"a",@progbits
	.p2align	6, 0x0
	.amdhsa_kernel _ZL23rocblas_syr_kernel_inc1ILb1ELi1024EfPKfS1_PfEvimT2_lT3_llT4_llli
		.amdhsa_group_segment_fixed_size 0
		.amdhsa_private_segment_fixed_size 0
		.amdhsa_kernarg_size 352
		.amdhsa_user_sgpr_count 2
		.amdhsa_user_sgpr_dispatch_ptr 0
		.amdhsa_user_sgpr_queue_ptr 0
		.amdhsa_user_sgpr_kernarg_segment_ptr 1
		.amdhsa_user_sgpr_dispatch_id 0
		.amdhsa_user_sgpr_kernarg_preload_length 0
		.amdhsa_user_sgpr_kernarg_preload_offset 0
		.amdhsa_user_sgpr_private_segment_size 0
		.amdhsa_wavefront_size32 1
		.amdhsa_uses_dynamic_stack 0
		.amdhsa_enable_private_segment 0
		.amdhsa_system_sgpr_workgroup_id_x 1
		.amdhsa_system_sgpr_workgroup_id_y 0
		.amdhsa_system_sgpr_workgroup_id_z 1
		.amdhsa_system_sgpr_workgroup_info 0
		.amdhsa_system_vgpr_workitem_id 0
		.amdhsa_next_free_vgpr 14
		.amdhsa_next_free_sgpr 29
		.amdhsa_named_barrier_count 0
		.amdhsa_reserve_vcc 1
		.amdhsa_float_round_mode_32 0
		.amdhsa_float_round_mode_16_64 0
		.amdhsa_float_denorm_mode_32 3
		.amdhsa_float_denorm_mode_16_64 3
		.amdhsa_fp16_overflow 0
		.amdhsa_memory_ordered 1
		.amdhsa_forward_progress 1
		.amdhsa_inst_pref_size 6
		.amdhsa_round_robin_scheduling 0
		.amdhsa_exception_fp_ieee_invalid_op 0
		.amdhsa_exception_fp_denorm_src 0
		.amdhsa_exception_fp_ieee_div_zero 0
		.amdhsa_exception_fp_ieee_overflow 0
		.amdhsa_exception_fp_ieee_underflow 0
		.amdhsa_exception_fp_ieee_inexact 0
		.amdhsa_exception_int_div_zero 0
	.end_amdhsa_kernel
	.section	.text._ZL23rocblas_syr_kernel_inc1ILb1ELi1024EfPKfS1_PfEvimT2_lT3_llT4_llli,"axG",@progbits,_ZL23rocblas_syr_kernel_inc1ILb1ELi1024EfPKfS1_PfEvimT2_lT3_llT4_llli,comdat
.Lfunc_end0:
	.size	_ZL23rocblas_syr_kernel_inc1ILb1ELi1024EfPKfS1_PfEvimT2_lT3_llT4_llli, .Lfunc_end0-_ZL23rocblas_syr_kernel_inc1ILb1ELi1024EfPKfS1_PfEvimT2_lT3_llT4_llli
                                        ; -- End function
	.set _ZL23rocblas_syr_kernel_inc1ILb1ELi1024EfPKfS1_PfEvimT2_lT3_llT4_llli.num_vgpr, 14
	.set _ZL23rocblas_syr_kernel_inc1ILb1ELi1024EfPKfS1_PfEvimT2_lT3_llT4_llli.num_agpr, 0
	.set _ZL23rocblas_syr_kernel_inc1ILb1ELi1024EfPKfS1_PfEvimT2_lT3_llT4_llli.numbered_sgpr, 29
	.set _ZL23rocblas_syr_kernel_inc1ILb1ELi1024EfPKfS1_PfEvimT2_lT3_llT4_llli.num_named_barrier, 0
	.set _ZL23rocblas_syr_kernel_inc1ILb1ELi1024EfPKfS1_PfEvimT2_lT3_llT4_llli.private_seg_size, 0
	.set _ZL23rocblas_syr_kernel_inc1ILb1ELi1024EfPKfS1_PfEvimT2_lT3_llT4_llli.uses_vcc, 1
	.set _ZL23rocblas_syr_kernel_inc1ILb1ELi1024EfPKfS1_PfEvimT2_lT3_llT4_llli.uses_flat_scratch, 0
	.set _ZL23rocblas_syr_kernel_inc1ILb1ELi1024EfPKfS1_PfEvimT2_lT3_llT4_llli.has_dyn_sized_stack, 0
	.set _ZL23rocblas_syr_kernel_inc1ILb1ELi1024EfPKfS1_PfEvimT2_lT3_llT4_llli.has_recursion, 0
	.set _ZL23rocblas_syr_kernel_inc1ILb1ELi1024EfPKfS1_PfEvimT2_lT3_llT4_llli.has_indirect_call, 0
	.section	.AMDGPU.csdata,"",@progbits
; Kernel info:
; codeLenInByte = 660
; TotalNumSgprs: 31
; NumVgprs: 14
; ScratchSize: 0
; MemoryBound: 0
; FloatMode: 240
; IeeeMode: 1
; LDSByteSize: 0 bytes/workgroup (compile time only)
; SGPRBlocks: 0
; VGPRBlocks: 0
; NumSGPRsForWavesPerEU: 31
; NumVGPRsForWavesPerEU: 14
; NamedBarCnt: 0
; Occupancy: 16
; WaveLimiterHint : 0
; COMPUTE_PGM_RSRC2:SCRATCH_EN: 0
; COMPUTE_PGM_RSRC2:USER_SGPR: 2
; COMPUTE_PGM_RSRC2:TRAP_HANDLER: 0
; COMPUTE_PGM_RSRC2:TGID_X_EN: 1
; COMPUTE_PGM_RSRC2:TGID_Y_EN: 0
; COMPUTE_PGM_RSRC2:TGID_Z_EN: 1
; COMPUTE_PGM_RSRC2:TIDIG_COMP_CNT: 0
	.section	.text._ZL18rocblas_syr_kernelILb1ELi1024EfPKfS1_PfEvimT2_lT3_lllT4_llli,"axG",@progbits,_ZL18rocblas_syr_kernelILb1ELi1024EfPKfS1_PfEvimT2_lT3_lllT4_llli,comdat
	.globl	_ZL18rocblas_syr_kernelILb1ELi1024EfPKfS1_PfEvimT2_lT3_lllT4_llli ; -- Begin function _ZL18rocblas_syr_kernelILb1ELi1024EfPKfS1_PfEvimT2_lT3_lllT4_llli
	.p2align	8
	.type	_ZL18rocblas_syr_kernelILb1ELi1024EfPKfS1_PfEvimT2_lT3_lllT4_llli,@function
_ZL18rocblas_syr_kernelILb1ELi1024EfPKfS1_PfEvimT2_lT3_lllT4_llli: ; @_ZL18rocblas_syr_kernelILb1ELi1024EfPKfS1_PfEvimT2_lT3_lllT4_llli
; %bb.0:
	s_load_b32 s26, s[0:1], 0x60
	s_bfe_u32 s2, ttmp6, 0x40014
	s_lshr_b32 s3, ttmp7, 16
	s_add_co_i32 s2, s2, 1
	s_bfe_u32 s4, ttmp6, 0x40008
	s_mul_i32 s2, s3, s2
	s_getreg_b32 s27, hwreg(HW_REG_IB_STS2, 6, 4)
	s_add_co_i32 s4, s4, s2
	s_cmp_eq_u32 s27, 0
	s_cselect_b32 s2, s3, s4
	s_mov_b32 s3, 0
	s_wait_kmcnt 0x0
	s_cmp_ge_u32 s2, s26
	s_cbranch_scc1 .LBB1_7
; %bb.1:
	s_clause 0x2
	s_load_b128 s[20:23], s[0:1], 0x48
	s_load_b512 s[4:19], s[0:1], 0x8
	s_load_b64 s[24:25], s[0:1], 0x58
	s_bfe_u32 s28, ttmp6, 0x4000c
	s_and_b32 s29, ttmp6, 15
	s_add_co_i32 s28, s28, 1
	v_mov_b32_e32 v1, 0
	s_mul_i32 s28, ttmp9, s28
	s_wait_xcnt 0x0
	s_add_nc_u64 s[0:1], s[0:1], 0x68
	s_add_co_i32 s30, s29, s28
	s_wait_kmcnt 0x0
	s_lshl_b64 s[20:21], s[20:21], 2
	s_lshl_b64 s[28:29], s[12:13], 2
	s_cmp_eq_u32 s27, 0
	s_add_nc_u64 s[12:13], s[18:19], s[20:21]
	s_add_nc_u64 s[10:11], s[10:11], s[28:29]
	s_cselect_b32 s18, ttmp9, s30
	s_branch .LBB1_4
.LBB1_2:                                ;   in Loop: Header=BB1_4 Depth=1
	s_wait_xcnt 0x0
	s_or_b32 exec_lo, exec_lo, s19
.LBB1_3:                                ;   in Loop: Header=BB1_4 Depth=1
	s_add_co_i32 s2, s2, 0x10000
	s_delay_alu instid0(SALU_CYCLE_1)
	s_cmp_lt_u32 s2, s26
	s_cbranch_scc0 .LBB1_7
.LBB1_4:                                ; =>This Inner Loop Header: Depth=1
	s_wait_xcnt 0x0
	s_mul_u64 s[20:21], s[8:9], s[2:3]
	s_delay_alu instid0(SALU_CYCLE_1) | instskip(NEXT) | instid1(SALU_CYCLE_1)
	s_lshl_b64 s[20:21], s[20:21], 2
	s_add_nc_u64 s[20:21], s[6:7], s[20:21]
	global_load_b32 v4, v1, s[20:21]
	s_wait_loadcnt 0x0
	v_cmp_eq_f32_e32 vcc_lo, 0, v4
	s_cbranch_vccnz .LBB1_3
; %bb.5:                                ;   in Loop: Header=BB1_4 Depth=1
	s_load_b32 s19, s[0:1], 0xc
	s_wait_kmcnt 0x0
	s_and_b32 s19, s19, 0xffff
	s_delay_alu instid0(SALU_CYCLE_1) | instskip(SKIP_1) | instid1(VALU_DEP_1)
	v_mad_nc_u64_u32 v[2:3], s19, s18, v[0:1]
	s_mov_b32 s19, exec_lo
	v_cmpx_gt_u64_e64 s[4:5], v[2:3]
	s_cbranch_execz .LBB1_2
; %bb.6:                                ;   in Loop: Header=BB1_4 Depth=1
	v_lshlrev_b64_e32 v[6:7], 3, v[2:3]
	s_mul_u64 s[20:21], s[24:25], s[2:3]
	s_mul_u64 s[28:29], s[16:17], s[2:3]
	s_lshl_b64 s[20:21], s[20:21], 2
	s_lshl_b64 s[28:29], s[28:29], 2
	s_add_nc_u64 s[20:21], s[12:13], s[20:21]
	s_add_nc_u64 s[28:29], s[10:11], s[28:29]
	v_cvt_f64_u32_e32 v[8:9], v7
	v_or_b32_e32 v3, 1, v6
	s_delay_alu instid0(VALU_DEP_1) | instskip(NEXT) | instid1(VALU_DEP_3)
	v_cvt_f64_u32_e32 v[6:7], v3
	v_ldexp_f64 v[8:9], v[8:9], 32
	s_delay_alu instid0(VALU_DEP_1) | instskip(NEXT) | instid1(VALU_DEP_1)
	v_add_f64_e32 v[6:7], v[8:9], v[6:7]
	v_cmp_gt_f64_e32 vcc_lo, 0x10000000, v[6:7]
	v_cndmask_b32_e64 v3, 0, 0x100, vcc_lo
	s_delay_alu instid0(VALU_DEP_1) | instskip(SKIP_1) | instid1(VALU_DEP_2)
	v_ldexp_f64 v[6:7], v[6:7], v3
	v_cndmask_b32_e64 v3, 0, 0xffffff80, vcc_lo
	v_rsq_f64_e32 v[8:9], v[6:7]
	v_cmp_class_f64_e64 vcc_lo, v[6:7], 0x260
	s_delay_alu instid0(TRANS32_DEP_1) | instskip(SKIP_1) | instid1(VALU_DEP_1)
	v_mul_f64_e32 v[10:11], v[6:7], v[8:9]
	v_mul_f64_e32 v[8:9], 0.5, v[8:9]
	v_fma_f64 v[12:13], -v[8:9], v[10:11], 0.5
	s_delay_alu instid0(VALU_DEP_1) | instskip(SKIP_1) | instid1(VALU_DEP_2)
	v_fmac_f64_e32 v[10:11], v[10:11], v[12:13]
	v_fmac_f64_e32 v[8:9], v[8:9], v[12:13]
	v_fma_f64 v[12:13], -v[10:11], v[10:11], v[6:7]
	s_delay_alu instid0(VALU_DEP_1) | instskip(NEXT) | instid1(VALU_DEP_1)
	v_fmac_f64_e32 v[10:11], v[12:13], v[8:9]
	v_fma_f64 v[12:13], -v[10:11], v[10:11], v[6:7]
	s_delay_alu instid0(VALU_DEP_1) | instskip(NEXT) | instid1(VALU_DEP_1)
	v_fmac_f64_e32 v[10:11], v[12:13], v[8:9]
	v_ldexp_f64 v[8:9], v[10:11], v3
	s_delay_alu instid0(VALU_DEP_1) | instskip(NEXT) | instid1(VALU_DEP_1)
	v_dual_cndmask_b32 v7, v9, v7 :: v_dual_cndmask_b32 v6, v8, v6
	v_add_f64_e32 v[6:7], -1.0, v[6:7]
	s_delay_alu instid0(VALU_DEP_1) | instskip(NEXT) | instid1(VALU_DEP_1)
	v_mul_f64_e32 v[6:7], 0.5, v[6:7]
	v_cvt_i32_f64_e32 v6, v[6:7]
	s_delay_alu instid0(VALU_DEP_1) | instskip(SKIP_1) | instid1(VALU_DEP_1)
	v_mad_u32 v3, v6, v6, v6
	v_ashrrev_i32_e32 v7, 31, v6
	v_mul_u64_e32 v[8:9], s[22:23], v[6:7]
	v_mul_u64_e32 v[6:7], s[14:15], v[6:7]
	s_delay_alu instid0(VALU_DEP_4) | instskip(NEXT) | instid1(VALU_DEP_1)
	v_lshrrev_b32_e32 v5, 31, v3
	v_add_nc_u32_e32 v3, v3, v5
	s_delay_alu instid0(VALU_DEP_1) | instskip(NEXT) | instid1(VALU_DEP_1)
	v_ashrrev_i32_e32 v3, 1, v3
	v_sub_nc_u32_e32 v2, v2, v3
	s_delay_alu instid0(VALU_DEP_1) | instskip(NEXT) | instid1(VALU_DEP_1)
	v_ashrrev_i32_e32 v3, 31, v2
	v_mul_u64_e32 v[10:11], s[14:15], v[2:3]
	v_lshl_add_u64 v[8:9], v[8:9], 2, s[20:21]
	v_lshl_add_u64 v[6:7], v[6:7], 2, s[28:29]
	s_delay_alu instid0(VALU_DEP_2) | instskip(NEXT) | instid1(VALU_DEP_4)
	v_lshl_add_u64 v[2:3], v[2:3], 2, v[8:9]
	v_lshl_add_u64 v[10:11], v[10:11], 2, s[28:29]
	s_clause 0x1
	global_load_b32 v5, v[10:11], off
	global_load_b32 v8, v[6:7], off
	;; [unrolled: 1-line block ×3, first 2 shown]
	s_wait_loadcnt 0x2
	v_mul_f32_e32 v4, v4, v5
	s_wait_loadcnt 0x0
	s_delay_alu instid0(VALU_DEP_1)
	v_fmac_f32_e32 v9, v4, v8
	global_store_b32 v[2:3], v9, off
	s_branch .LBB1_2
.LBB1_7:
	s_endpgm
	.section	.rodata,"a",@progbits
	.p2align	6, 0x0
	.amdhsa_kernel _ZL18rocblas_syr_kernelILb1ELi1024EfPKfS1_PfEvimT2_lT3_lllT4_llli
		.amdhsa_group_segment_fixed_size 0
		.amdhsa_private_segment_fixed_size 0
		.amdhsa_kernarg_size 360
		.amdhsa_user_sgpr_count 2
		.amdhsa_user_sgpr_dispatch_ptr 0
		.amdhsa_user_sgpr_queue_ptr 0
		.amdhsa_user_sgpr_kernarg_segment_ptr 1
		.amdhsa_user_sgpr_dispatch_id 0
		.amdhsa_user_sgpr_kernarg_preload_length 0
		.amdhsa_user_sgpr_kernarg_preload_offset 0
		.amdhsa_user_sgpr_private_segment_size 0
		.amdhsa_wavefront_size32 1
		.amdhsa_uses_dynamic_stack 0
		.amdhsa_enable_private_segment 0
		.amdhsa_system_sgpr_workgroup_id_x 1
		.amdhsa_system_sgpr_workgroup_id_y 0
		.amdhsa_system_sgpr_workgroup_id_z 1
		.amdhsa_system_sgpr_workgroup_info 0
		.amdhsa_system_vgpr_workitem_id 0
		.amdhsa_next_free_vgpr 14
		.amdhsa_next_free_sgpr 31
		.amdhsa_named_barrier_count 0
		.amdhsa_reserve_vcc 1
		.amdhsa_float_round_mode_32 0
		.amdhsa_float_round_mode_16_64 0
		.amdhsa_float_denorm_mode_32 3
		.amdhsa_float_denorm_mode_16_64 3
		.amdhsa_fp16_overflow 0
		.amdhsa_memory_ordered 1
		.amdhsa_forward_progress 1
		.amdhsa_inst_pref_size 6
		.amdhsa_round_robin_scheduling 0
		.amdhsa_exception_fp_ieee_invalid_op 0
		.amdhsa_exception_fp_denorm_src 0
		.amdhsa_exception_fp_ieee_div_zero 0
		.amdhsa_exception_fp_ieee_overflow 0
		.amdhsa_exception_fp_ieee_underflow 0
		.amdhsa_exception_fp_ieee_inexact 0
		.amdhsa_exception_int_div_zero 0
	.end_amdhsa_kernel
	.section	.text._ZL18rocblas_syr_kernelILb1ELi1024EfPKfS1_PfEvimT2_lT3_lllT4_llli,"axG",@progbits,_ZL18rocblas_syr_kernelILb1ELi1024EfPKfS1_PfEvimT2_lT3_lllT4_llli,comdat
.Lfunc_end1:
	.size	_ZL18rocblas_syr_kernelILb1ELi1024EfPKfS1_PfEvimT2_lT3_lllT4_llli, .Lfunc_end1-_ZL18rocblas_syr_kernelILb1ELi1024EfPKfS1_PfEvimT2_lT3_lllT4_llli
                                        ; -- End function
	.set _ZL18rocblas_syr_kernelILb1ELi1024EfPKfS1_PfEvimT2_lT3_lllT4_llli.num_vgpr, 14
	.set _ZL18rocblas_syr_kernelILb1ELi1024EfPKfS1_PfEvimT2_lT3_lllT4_llli.num_agpr, 0
	.set _ZL18rocblas_syr_kernelILb1ELi1024EfPKfS1_PfEvimT2_lT3_lllT4_llli.numbered_sgpr, 31
	.set _ZL18rocblas_syr_kernelILb1ELi1024EfPKfS1_PfEvimT2_lT3_lllT4_llli.num_named_barrier, 0
	.set _ZL18rocblas_syr_kernelILb1ELi1024EfPKfS1_PfEvimT2_lT3_lllT4_llli.private_seg_size, 0
	.set _ZL18rocblas_syr_kernelILb1ELi1024EfPKfS1_PfEvimT2_lT3_lllT4_llli.uses_vcc, 1
	.set _ZL18rocblas_syr_kernelILb1ELi1024EfPKfS1_PfEvimT2_lT3_lllT4_llli.uses_flat_scratch, 0
	.set _ZL18rocblas_syr_kernelILb1ELi1024EfPKfS1_PfEvimT2_lT3_lllT4_llli.has_dyn_sized_stack, 0
	.set _ZL18rocblas_syr_kernelILb1ELi1024EfPKfS1_PfEvimT2_lT3_lllT4_llli.has_recursion, 0
	.set _ZL18rocblas_syr_kernelILb1ELi1024EfPKfS1_PfEvimT2_lT3_lllT4_llli.has_indirect_call, 0
	.section	.AMDGPU.csdata,"",@progbits
; Kernel info:
; codeLenInByte = 684
; TotalNumSgprs: 33
; NumVgprs: 14
; ScratchSize: 0
; MemoryBound: 0
; FloatMode: 240
; IeeeMode: 1
; LDSByteSize: 0 bytes/workgroup (compile time only)
; SGPRBlocks: 0
; VGPRBlocks: 0
; NumSGPRsForWavesPerEU: 33
; NumVGPRsForWavesPerEU: 14
; NamedBarCnt: 0
; Occupancy: 16
; WaveLimiterHint : 0
; COMPUTE_PGM_RSRC2:SCRATCH_EN: 0
; COMPUTE_PGM_RSRC2:USER_SGPR: 2
; COMPUTE_PGM_RSRC2:TRAP_HANDLER: 0
; COMPUTE_PGM_RSRC2:TGID_X_EN: 1
; COMPUTE_PGM_RSRC2:TGID_Y_EN: 0
; COMPUTE_PGM_RSRC2:TGID_Z_EN: 1
; COMPUTE_PGM_RSRC2:TIDIG_COMP_CNT: 0
	.section	.text._ZL23rocblas_syr_kernel_inc1ILb0ELi1024EfPKfS1_PfEvimT2_lT3_llT4_llli,"axG",@progbits,_ZL23rocblas_syr_kernel_inc1ILb0ELi1024EfPKfS1_PfEvimT2_lT3_llT4_llli,comdat
	.globl	_ZL23rocblas_syr_kernel_inc1ILb0ELi1024EfPKfS1_PfEvimT2_lT3_llT4_llli ; -- Begin function _ZL23rocblas_syr_kernel_inc1ILb0ELi1024EfPKfS1_PfEvimT2_lT3_llT4_llli
	.p2align	8
	.type	_ZL23rocblas_syr_kernel_inc1ILb0ELi1024EfPKfS1_PfEvimT2_lT3_llT4_llli,@function
_ZL23rocblas_syr_kernel_inc1ILb0ELi1024EfPKfS1_PfEvimT2_lT3_llT4_llli: ; @_ZL23rocblas_syr_kernel_inc1ILb0ELi1024EfPKfS1_PfEvimT2_lT3_llT4_llli
; %bb.0:
	s_load_b32 s26, s[0:1], 0x58
	s_bfe_u32 s2, ttmp6, 0x40014
	s_lshr_b32 s3, ttmp7, 16
	s_add_co_i32 s2, s2, 1
	s_bfe_u32 s4, ttmp6, 0x40008
	s_mul_i32 s2, s3, s2
	s_getreg_b32 s27, hwreg(HW_REG_IB_STS2, 6, 4)
	s_add_co_i32 s4, s4, s2
	s_cmp_eq_u32 s27, 0
	s_cselect_b32 s2, s3, s4
	s_mov_b32 s3, 0
	s_wait_kmcnt 0x0
	s_cmp_ge_u32 s2, s26
	s_cbranch_scc1 .LBB2_7
; %bb.1:
	s_clause 0x2
	s_load_b32 s24, s[0:1], 0x0
	s_load_b512 s[4:19], s[0:1], 0x8
	s_load_b128 s[20:23], s[0:1], 0x48
	s_bfe_u32 s25, ttmp6, 0x4000c
	s_and_b32 s28, ttmp6, 15
	s_add_co_i32 s25, s25, 1
	v_mov_b32_e32 v1, 0
	s_mul_i32 s25, ttmp9, s25
	s_wait_xcnt 0x0
	s_add_nc_u64 s[0:1], s[0:1], 0x60
	s_add_co_i32 s30, s28, s25
	s_wait_kmcnt 0x0
	s_ashr_i32 s25, s24, 31
	s_lshl_b64 s[18:19], s[18:19], 2
	s_lshl_b64 s[28:29], s[12:13], 2
	s_cmp_eq_u32 s27, 0
	s_add_nc_u64 s[12:13], s[16:17], s[18:19]
	s_add_nc_u64 s[10:11], s[10:11], s[28:29]
	s_cselect_b32 s16, ttmp9, s30
	s_add_co_i32 s17, s24, -1
	s_branch .LBB2_4
.LBB2_2:                                ;   in Loop: Header=BB2_4 Depth=1
	s_wait_xcnt 0x0
	s_or_b32 exec_lo, exec_lo, s18
.LBB2_3:                                ;   in Loop: Header=BB2_4 Depth=1
	s_add_co_i32 s2, s2, 0x10000
	s_delay_alu instid0(SALU_CYCLE_1)
	s_cmp_lt_u32 s2, s26
	s_cbranch_scc0 .LBB2_7
.LBB2_4:                                ; =>This Inner Loop Header: Depth=1
	s_wait_xcnt 0x0
	s_mul_u64 s[18:19], s[8:9], s[2:3]
	s_delay_alu instid0(SALU_CYCLE_1) | instskip(NEXT) | instid1(SALU_CYCLE_1)
	s_lshl_b64 s[18:19], s[18:19], 2
	s_add_nc_u64 s[18:19], s[6:7], s[18:19]
	global_load_b32 v4, v1, s[18:19]
	s_wait_loadcnt 0x0
	v_cmp_eq_f32_e32 vcc_lo, 0, v4
	s_cbranch_vccnz .LBB2_3
; %bb.5:                                ;   in Loop: Header=BB2_4 Depth=1
	s_wait_xcnt 0x0
	s_load_b32 s18, s[0:1], 0xc
	s_wait_kmcnt 0x0
	s_and_b32 s18, s18, 0xffff
	s_delay_alu instid0(SALU_CYCLE_1) | instskip(SKIP_1) | instid1(VALU_DEP_1)
	v_mad_nc_u64_u32 v[2:3], s18, s16, v[0:1]
	s_mov_b32 s18, exec_lo
	v_cmpx_gt_u64_e64 s[4:5], v[2:3]
	s_cbranch_execz .LBB2_2
; %bb.6:                                ;   in Loop: Header=BB2_4 Depth=1
	v_not_b32_e32 v3, v3
	v_not_b32_e32 v2, v2
	s_mul_u64 s[28:29], s[22:23], s[2:3]
	s_mul_u64 s[30:31], s[14:15], s[2:3]
	s_lshl_b64 s[28:29], s[28:29], 2
	s_lshl_b64 s[30:31], s[30:31], 2
	v_add_nc_u64_e32 v[2:3], s[4:5], v[2:3]
	s_add_nc_u64 s[28:29], s[12:13], s[28:29]
	s_delay_alu instid0(VALU_DEP_1) | instskip(SKIP_1) | instid1(VALU_DEP_2)
	v_lshlrev_b64_e32 v[6:7], 3, v[2:3]
	v_sub_nc_u32_e32 v2, s17, v2
	v_cvt_f64_u32_e32 v[8:9], v7
	s_delay_alu instid0(VALU_DEP_3) | instskip(NEXT) | instid1(VALU_DEP_1)
	v_or_b32_e32 v3, 1, v6
	v_cvt_f64_u32_e32 v[6:7], v3
	s_delay_alu instid0(VALU_DEP_3) | instskip(NEXT) | instid1(VALU_DEP_1)
	v_ldexp_f64 v[8:9], v[8:9], 32
	v_add_f64_e32 v[6:7], v[8:9], v[6:7]
	s_delay_alu instid0(VALU_DEP_1) | instskip(SKIP_1) | instid1(VALU_DEP_1)
	v_cmp_gt_f64_e32 vcc_lo, 0x10000000, v[6:7]
	v_cndmask_b32_e64 v3, 0, 0x100, vcc_lo
	v_ldexp_f64 v[6:7], v[6:7], v3
	v_cndmask_b32_e64 v3, 0, 0xffffff80, vcc_lo
	s_delay_alu instid0(VALU_DEP_2) | instskip(SKIP_1) | instid1(TRANS32_DEP_1)
	v_rsq_f64_e32 v[8:9], v[6:7]
	v_cmp_class_f64_e64 vcc_lo, v[6:7], 0x260
	v_mul_f64_e32 v[10:11], v[6:7], v[8:9]
	v_mul_f64_e32 v[8:9], 0.5, v[8:9]
	s_delay_alu instid0(VALU_DEP_1) | instskip(NEXT) | instid1(VALU_DEP_1)
	v_fma_f64 v[12:13], -v[8:9], v[10:11], 0.5
	v_fmac_f64_e32 v[10:11], v[10:11], v[12:13]
	v_fmac_f64_e32 v[8:9], v[8:9], v[12:13]
	s_delay_alu instid0(VALU_DEP_2) | instskip(NEXT) | instid1(VALU_DEP_1)
	v_fma_f64 v[12:13], -v[10:11], v[10:11], v[6:7]
	v_fmac_f64_e32 v[10:11], v[12:13], v[8:9]
	s_delay_alu instid0(VALU_DEP_1) | instskip(NEXT) | instid1(VALU_DEP_1)
	v_fma_f64 v[12:13], -v[10:11], v[10:11], v[6:7]
	v_fmac_f64_e32 v[10:11], v[12:13], v[8:9]
	s_delay_alu instid0(VALU_DEP_1) | instskip(NEXT) | instid1(VALU_DEP_1)
	v_ldexp_f64 v[8:9], v[10:11], v3
	v_dual_cndmask_b32 v7, v9, v7 :: v_dual_cndmask_b32 v6, v8, v6
	s_delay_alu instid0(VALU_DEP_1) | instskip(NEXT) | instid1(VALU_DEP_1)
	v_add_f64_e32 v[6:7], -1.0, v[6:7]
	v_mul_f64_e32 v[6:7], 0.5, v[6:7]
	s_delay_alu instid0(VALU_DEP_1) | instskip(NEXT) | instid1(VALU_DEP_1)
	v_cvt_i32_f64_e32 v6, v[6:7]
	v_mad_u32 v3, v6, v6, v6
	s_delay_alu instid0(VALU_DEP_1) | instskip(NEXT) | instid1(VALU_DEP_1)
	v_lshrrev_b32_e32 v5, 31, v3
	v_dual_add_nc_u32 v3, v3, v5 :: v_dual_sub_nc_u32 v8, s17, v6
	s_delay_alu instid0(VALU_DEP_1) | instskip(NEXT) | instid1(VALU_DEP_1)
	v_dual_ashrrev_i32 v3, 1, v3 :: v_dual_ashrrev_i32 v9, 31, v8
	v_dual_ashrrev_i32 v7, 31, v6 :: v_dual_add_nc_u32 v2, v2, v3
	s_delay_alu instid0(VALU_DEP_2) | instskip(NEXT) | instid1(VALU_DEP_2)
	v_mul_u64_e32 v[8:9], s[20:21], v[8:9]
	v_sub_nc_u64_e32 v[6:7], s[24:25], v[6:7]
	s_delay_alu instid0(VALU_DEP_3) | instskip(NEXT) | instid1(VALU_DEP_3)
	v_ashrrev_i32_e32 v3, 31, v2
	v_lshl_add_u64 v[8:9], v[8:9], 2, s[28:29]
	s_add_nc_u64 s[28:29], s[10:11], s[30:31]
	s_delay_alu instid0(VALU_DEP_3) | instid1(SALU_CYCLE_1)
	v_lshl_add_u64 v[6:7], v[6:7], 2, s[28:29]
	s_delay_alu instid0(VALU_DEP_2)
	v_lshl_add_u64 v[8:9], v[2:3], 2, v[8:9]
	s_clause 0x1
	global_load_b32 v3, v2, s[28:29] scale_offset
	global_load_b32 v5, v[6:7], off offset:-4
	global_load_b32 v10, v[8:9], off
	s_wait_loadcnt 0x2
	s_wait_xcnt 0x2
	v_mul_f32_e32 v2, v4, v3
	s_wait_loadcnt 0x0
	s_delay_alu instid0(VALU_DEP_1)
	v_fmac_f32_e32 v10, v2, v5
	global_store_b32 v[8:9], v10, off
	s_branch .LBB2_2
.LBB2_7:
	s_endpgm
	.section	.rodata,"a",@progbits
	.p2align	6, 0x0
	.amdhsa_kernel _ZL23rocblas_syr_kernel_inc1ILb0ELi1024EfPKfS1_PfEvimT2_lT3_llT4_llli
		.amdhsa_group_segment_fixed_size 0
		.amdhsa_private_segment_fixed_size 0
		.amdhsa_kernarg_size 352
		.amdhsa_user_sgpr_count 2
		.amdhsa_user_sgpr_dispatch_ptr 0
		.amdhsa_user_sgpr_queue_ptr 0
		.amdhsa_user_sgpr_kernarg_segment_ptr 1
		.amdhsa_user_sgpr_dispatch_id 0
		.amdhsa_user_sgpr_kernarg_preload_length 0
		.amdhsa_user_sgpr_kernarg_preload_offset 0
		.amdhsa_user_sgpr_private_segment_size 0
		.amdhsa_wavefront_size32 1
		.amdhsa_uses_dynamic_stack 0
		.amdhsa_enable_private_segment 0
		.amdhsa_system_sgpr_workgroup_id_x 1
		.amdhsa_system_sgpr_workgroup_id_y 0
		.amdhsa_system_sgpr_workgroup_id_z 1
		.amdhsa_system_sgpr_workgroup_info 0
		.amdhsa_system_vgpr_workitem_id 0
		.amdhsa_next_free_vgpr 14
		.amdhsa_next_free_sgpr 32
		.amdhsa_named_barrier_count 0
		.amdhsa_reserve_vcc 1
		.amdhsa_float_round_mode_32 0
		.amdhsa_float_round_mode_16_64 0
		.amdhsa_float_denorm_mode_32 3
		.amdhsa_float_denorm_mode_16_64 3
		.amdhsa_fp16_overflow 0
		.amdhsa_memory_ordered 1
		.amdhsa_forward_progress 1
		.amdhsa_inst_pref_size 6
		.amdhsa_round_robin_scheduling 0
		.amdhsa_exception_fp_ieee_invalid_op 0
		.amdhsa_exception_fp_denorm_src 0
		.amdhsa_exception_fp_ieee_div_zero 0
		.amdhsa_exception_fp_ieee_overflow 0
		.amdhsa_exception_fp_ieee_underflow 0
		.amdhsa_exception_fp_ieee_inexact 0
		.amdhsa_exception_int_div_zero 0
	.end_amdhsa_kernel
	.section	.text._ZL23rocblas_syr_kernel_inc1ILb0ELi1024EfPKfS1_PfEvimT2_lT3_llT4_llli,"axG",@progbits,_ZL23rocblas_syr_kernel_inc1ILb0ELi1024EfPKfS1_PfEvimT2_lT3_llT4_llli,comdat
.Lfunc_end2:
	.size	_ZL23rocblas_syr_kernel_inc1ILb0ELi1024EfPKfS1_PfEvimT2_lT3_llT4_llli, .Lfunc_end2-_ZL23rocblas_syr_kernel_inc1ILb0ELi1024EfPKfS1_PfEvimT2_lT3_llT4_llli
                                        ; -- End function
	.set _ZL23rocblas_syr_kernel_inc1ILb0ELi1024EfPKfS1_PfEvimT2_lT3_llT4_llli.num_vgpr, 14
	.set _ZL23rocblas_syr_kernel_inc1ILb0ELi1024EfPKfS1_PfEvimT2_lT3_llT4_llli.num_agpr, 0
	.set _ZL23rocblas_syr_kernel_inc1ILb0ELi1024EfPKfS1_PfEvimT2_lT3_llT4_llli.numbered_sgpr, 32
	.set _ZL23rocblas_syr_kernel_inc1ILb0ELi1024EfPKfS1_PfEvimT2_lT3_llT4_llli.num_named_barrier, 0
	.set _ZL23rocblas_syr_kernel_inc1ILb0ELi1024EfPKfS1_PfEvimT2_lT3_llT4_llli.private_seg_size, 0
	.set _ZL23rocblas_syr_kernel_inc1ILb0ELi1024EfPKfS1_PfEvimT2_lT3_llT4_llli.uses_vcc, 1
	.set _ZL23rocblas_syr_kernel_inc1ILb0ELi1024EfPKfS1_PfEvimT2_lT3_llT4_llli.uses_flat_scratch, 0
	.set _ZL23rocblas_syr_kernel_inc1ILb0ELi1024EfPKfS1_PfEvimT2_lT3_llT4_llli.has_dyn_sized_stack, 0
	.set _ZL23rocblas_syr_kernel_inc1ILb0ELi1024EfPKfS1_PfEvimT2_lT3_llT4_llli.has_recursion, 0
	.set _ZL23rocblas_syr_kernel_inc1ILb0ELi1024EfPKfS1_PfEvimT2_lT3_llT4_llli.has_indirect_call, 0
	.section	.AMDGPU.csdata,"",@progbits
; Kernel info:
; codeLenInByte = 736
; TotalNumSgprs: 34
; NumVgprs: 14
; ScratchSize: 0
; MemoryBound: 0
; FloatMode: 240
; IeeeMode: 1
; LDSByteSize: 0 bytes/workgroup (compile time only)
; SGPRBlocks: 0
; VGPRBlocks: 0
; NumSGPRsForWavesPerEU: 34
; NumVGPRsForWavesPerEU: 14
; NamedBarCnt: 0
; Occupancy: 16
; WaveLimiterHint : 0
; COMPUTE_PGM_RSRC2:SCRATCH_EN: 0
; COMPUTE_PGM_RSRC2:USER_SGPR: 2
; COMPUTE_PGM_RSRC2:TRAP_HANDLER: 0
; COMPUTE_PGM_RSRC2:TGID_X_EN: 1
; COMPUTE_PGM_RSRC2:TGID_Y_EN: 0
; COMPUTE_PGM_RSRC2:TGID_Z_EN: 1
; COMPUTE_PGM_RSRC2:TIDIG_COMP_CNT: 0
	.section	.text._ZL18rocblas_syr_kernelILb0ELi1024EfPKfS1_PfEvimT2_lT3_lllT4_llli,"axG",@progbits,_ZL18rocblas_syr_kernelILb0ELi1024EfPKfS1_PfEvimT2_lT3_lllT4_llli,comdat
	.globl	_ZL18rocblas_syr_kernelILb0ELi1024EfPKfS1_PfEvimT2_lT3_lllT4_llli ; -- Begin function _ZL18rocblas_syr_kernelILb0ELi1024EfPKfS1_PfEvimT2_lT3_lllT4_llli
	.p2align	8
	.type	_ZL18rocblas_syr_kernelILb0ELi1024EfPKfS1_PfEvimT2_lT3_lllT4_llli,@function
_ZL18rocblas_syr_kernelILb0ELi1024EfPKfS1_PfEvimT2_lT3_lllT4_llli: ; @_ZL18rocblas_syr_kernelILb0ELi1024EfPKfS1_PfEvimT2_lT3_lllT4_llli
; %bb.0:
	s_load_b32 s26, s[0:1], 0x60
	s_bfe_u32 s2, ttmp6, 0x40014
	s_lshr_b32 s3, ttmp7, 16
	s_add_co_i32 s2, s2, 1
	s_bfe_u32 s4, ttmp6, 0x40008
	s_mul_i32 s2, s3, s2
	s_getreg_b32 s27, hwreg(HW_REG_IB_STS2, 6, 4)
	s_add_co_i32 s4, s4, s2
	s_cmp_eq_u32 s27, 0
	s_cselect_b32 s2, s3, s4
	s_mov_b32 s3, 0
	s_wait_kmcnt 0x0
	s_cmp_ge_u32 s2, s26
	s_cbranch_scc1 .LBB3_7
; %bb.1:
	s_clause 0x3
	s_load_b128 s[20:23], s[0:1], 0x48
	s_load_b512 s[4:19], s[0:1], 0x8
	s_load_b32 s30, s[0:1], 0x0
	s_load_b64 s[24:25], s[0:1], 0x58
	s_bfe_u32 s28, ttmp6, 0x4000c
	s_and_b32 s29, ttmp6, 15
	s_add_co_i32 s28, s28, 1
	v_mov_b32_e32 v1, 0
	s_mul_i32 s28, ttmp9, s28
	s_wait_xcnt 0x0
	s_add_nc_u64 s[0:1], s[0:1], 0x68
	s_add_co_i32 s31, s29, s28
	s_wait_kmcnt 0x0
	s_lshl_b64 s[20:21], s[20:21], 2
	s_lshl_b64 s[28:29], s[12:13], 2
	s_cmp_eq_u32 s27, 0
	s_add_nc_u64 s[12:13], s[18:19], s[20:21]
	s_add_nc_u64 s[10:11], s[10:11], s[28:29]
	s_cselect_b32 s18, ttmp9, s31
	s_add_co_i32 s19, s30, -1
	s_branch .LBB3_4
.LBB3_2:                                ;   in Loop: Header=BB3_4 Depth=1
	s_wait_xcnt 0x0
	s_or_b32 exec_lo, exec_lo, s20
.LBB3_3:                                ;   in Loop: Header=BB3_4 Depth=1
	s_add_co_i32 s2, s2, 0x10000
	s_delay_alu instid0(SALU_CYCLE_1)
	s_cmp_lt_u32 s2, s26
	s_cbranch_scc0 .LBB3_7
.LBB3_4:                                ; =>This Inner Loop Header: Depth=1
	s_wait_xcnt 0x0
	s_mul_u64 s[20:21], s[8:9], s[2:3]
	s_delay_alu instid0(SALU_CYCLE_1) | instskip(NEXT) | instid1(SALU_CYCLE_1)
	s_lshl_b64 s[20:21], s[20:21], 2
	s_add_nc_u64 s[20:21], s[6:7], s[20:21]
	global_load_b32 v4, v1, s[20:21]
	s_wait_loadcnt 0x0
	v_cmp_eq_f32_e32 vcc_lo, 0, v4
	s_cbranch_vccnz .LBB3_3
; %bb.5:                                ;   in Loop: Header=BB3_4 Depth=1
	s_wait_xcnt 0x0
	s_load_b32 s20, s[0:1], 0xc
	s_wait_kmcnt 0x0
	s_and_b32 s20, s20, 0xffff
	s_delay_alu instid0(SALU_CYCLE_1) | instskip(SKIP_1) | instid1(VALU_DEP_1)
	v_mad_nc_u64_u32 v[2:3], s20, s18, v[0:1]
	s_mov_b32 s20, exec_lo
	v_cmpx_gt_u64_e64 s[4:5], v[2:3]
	s_cbranch_execz .LBB3_2
; %bb.6:                                ;   in Loop: Header=BB3_4 Depth=1
	v_not_b32_e32 v3, v3
	v_not_b32_e32 v2, v2
	s_mul_u64 s[28:29], s[24:25], s[2:3]
	s_mul_u64 s[30:31], s[16:17], s[2:3]
	s_lshl_b64 s[28:29], s[28:29], 2
	s_lshl_b64 s[30:31], s[30:31], 2
	v_add_nc_u64_e32 v[2:3], s[4:5], v[2:3]
	s_add_nc_u64 s[28:29], s[12:13], s[28:29]
	s_add_nc_u64 s[30:31], s[10:11], s[30:31]
	s_delay_alu instid0(VALU_DEP_1) | instskip(NEXT) | instid1(VALU_DEP_1)
	v_lshlrev_b64_e32 v[6:7], 3, v[2:3]
	v_cvt_f64_u32_e32 v[8:9], v7
	s_delay_alu instid0(VALU_DEP_2) | instskip(NEXT) | instid1(VALU_DEP_1)
	v_or_b32_e32 v3, 1, v6
	v_cvt_f64_u32_e32 v[6:7], v3
	s_delay_alu instid0(VALU_DEP_3) | instskip(NEXT) | instid1(VALU_DEP_1)
	v_ldexp_f64 v[8:9], v[8:9], 32
	v_add_f64_e32 v[6:7], v[8:9], v[6:7]
	s_delay_alu instid0(VALU_DEP_1) | instskip(SKIP_1) | instid1(VALU_DEP_1)
	v_cmp_gt_f64_e32 vcc_lo, 0x10000000, v[6:7]
	v_cndmask_b32_e64 v3, 0, 0x100, vcc_lo
	v_ldexp_f64 v[6:7], v[6:7], v3
	v_cndmask_b32_e64 v3, 0, 0xffffff80, vcc_lo
	s_delay_alu instid0(VALU_DEP_2) | instskip(SKIP_1) | instid1(TRANS32_DEP_1)
	v_rsq_f64_e32 v[8:9], v[6:7]
	v_cmp_class_f64_e64 vcc_lo, v[6:7], 0x260
	v_mul_f64_e32 v[10:11], v[6:7], v[8:9]
	v_mul_f64_e32 v[8:9], 0.5, v[8:9]
	s_delay_alu instid0(VALU_DEP_1) | instskip(NEXT) | instid1(VALU_DEP_1)
	v_fma_f64 v[12:13], -v[8:9], v[10:11], 0.5
	v_fmac_f64_e32 v[10:11], v[10:11], v[12:13]
	v_fmac_f64_e32 v[8:9], v[8:9], v[12:13]
	s_delay_alu instid0(VALU_DEP_2) | instskip(NEXT) | instid1(VALU_DEP_1)
	v_fma_f64 v[12:13], -v[10:11], v[10:11], v[6:7]
	v_fmac_f64_e32 v[10:11], v[12:13], v[8:9]
	s_delay_alu instid0(VALU_DEP_1) | instskip(NEXT) | instid1(VALU_DEP_1)
	v_fma_f64 v[12:13], -v[10:11], v[10:11], v[6:7]
	v_fmac_f64_e32 v[10:11], v[12:13], v[8:9]
	s_delay_alu instid0(VALU_DEP_1) | instskip(NEXT) | instid1(VALU_DEP_1)
	v_ldexp_f64 v[8:9], v[10:11], v3
	v_dual_cndmask_b32 v7, v9, v7 :: v_dual_cndmask_b32 v6, v8, v6
	s_delay_alu instid0(VALU_DEP_1) | instskip(NEXT) | instid1(VALU_DEP_1)
	v_add_f64_e32 v[6:7], -1.0, v[6:7]
	v_mul_f64_e32 v[6:7], 0.5, v[6:7]
	s_delay_alu instid0(VALU_DEP_1) | instskip(NEXT) | instid1(VALU_DEP_1)
	v_cvt_i32_f64_e32 v3, v[6:7]
	v_mad_u32 v5, v3, v3, v3
	s_delay_alu instid0(VALU_DEP_1) | instskip(NEXT) | instid1(VALU_DEP_1)
	v_lshrrev_b32_e32 v6, 31, v5
	v_add_nc_u32_e32 v5, v5, v6
	v_dual_sub_nc_u32 v6, s19, v2 :: v_dual_sub_nc_u32 v2, s19, v3
	s_delay_alu instid0(VALU_DEP_1) | instskip(NEXT) | instid1(VALU_DEP_1)
	v_dual_ashrrev_i32 v5, 1, v5 :: v_dual_ashrrev_i32 v3, 31, v2
	v_add_nc_u32_e32 v6, v6, v5
	s_delay_alu instid0(VALU_DEP_2) | instskip(SKIP_1) | instid1(VALU_DEP_3)
	v_mul_u64_e32 v[8:9], s[22:23], v[2:3]
	v_mul_u64_e32 v[2:3], s[14:15], v[2:3]
	v_ashrrev_i32_e32 v7, 31, v6
	s_delay_alu instid0(VALU_DEP_1) | instskip(NEXT) | instid1(VALU_DEP_4)
	v_mul_u64_e32 v[10:11], s[14:15], v[6:7]
	v_lshl_add_u64 v[8:9], v[8:9], 2, s[28:29]
	s_delay_alu instid0(VALU_DEP_4) | instskip(NEXT) | instid1(VALU_DEP_2)
	v_lshl_add_u64 v[2:3], v[2:3], 2, s[30:31]
	v_lshl_add_u64 v[6:7], v[6:7], 2, v[8:9]
	s_delay_alu instid0(VALU_DEP_4)
	v_lshl_add_u64 v[10:11], v[10:11], 2, s[30:31]
	s_clause 0x1
	global_load_b32 v5, v[10:11], off
	global_load_b32 v8, v[2:3], off
	;; [unrolled: 1-line block ×3, first 2 shown]
	s_wait_loadcnt 0x2
	s_wait_xcnt 0x1
	v_mul_f32_e32 v2, v4, v5
	s_wait_loadcnt 0x0
	s_delay_alu instid0(VALU_DEP_1)
	v_fmac_f32_e32 v9, v2, v8
	global_store_b32 v[6:7], v9, off
	s_branch .LBB3_2
.LBB3_7:
	s_endpgm
	.section	.rodata,"a",@progbits
	.p2align	6, 0x0
	.amdhsa_kernel _ZL18rocblas_syr_kernelILb0ELi1024EfPKfS1_PfEvimT2_lT3_lllT4_llli
		.amdhsa_group_segment_fixed_size 0
		.amdhsa_private_segment_fixed_size 0
		.amdhsa_kernarg_size 360
		.amdhsa_user_sgpr_count 2
		.amdhsa_user_sgpr_dispatch_ptr 0
		.amdhsa_user_sgpr_queue_ptr 0
		.amdhsa_user_sgpr_kernarg_segment_ptr 1
		.amdhsa_user_sgpr_dispatch_id 0
		.amdhsa_user_sgpr_kernarg_preload_length 0
		.amdhsa_user_sgpr_kernarg_preload_offset 0
		.amdhsa_user_sgpr_private_segment_size 0
		.amdhsa_wavefront_size32 1
		.amdhsa_uses_dynamic_stack 0
		.amdhsa_enable_private_segment 0
		.amdhsa_system_sgpr_workgroup_id_x 1
		.amdhsa_system_sgpr_workgroup_id_y 0
		.amdhsa_system_sgpr_workgroup_id_z 1
		.amdhsa_system_sgpr_workgroup_info 0
		.amdhsa_system_vgpr_workitem_id 0
		.amdhsa_next_free_vgpr 14
		.amdhsa_next_free_sgpr 32
		.amdhsa_named_barrier_count 0
		.amdhsa_reserve_vcc 1
		.amdhsa_float_round_mode_32 0
		.amdhsa_float_round_mode_16_64 0
		.amdhsa_float_denorm_mode_32 3
		.amdhsa_float_denorm_mode_16_64 3
		.amdhsa_fp16_overflow 0
		.amdhsa_memory_ordered 1
		.amdhsa_forward_progress 1
		.amdhsa_inst_pref_size 6
		.amdhsa_round_robin_scheduling 0
		.amdhsa_exception_fp_ieee_invalid_op 0
		.amdhsa_exception_fp_denorm_src 0
		.amdhsa_exception_fp_ieee_div_zero 0
		.amdhsa_exception_fp_ieee_overflow 0
		.amdhsa_exception_fp_ieee_underflow 0
		.amdhsa_exception_fp_ieee_inexact 0
		.amdhsa_exception_int_div_zero 0
	.end_amdhsa_kernel
	.section	.text._ZL18rocblas_syr_kernelILb0ELi1024EfPKfS1_PfEvimT2_lT3_lllT4_llli,"axG",@progbits,_ZL18rocblas_syr_kernelILb0ELi1024EfPKfS1_PfEvimT2_lT3_lllT4_llli,comdat
.Lfunc_end3:
	.size	_ZL18rocblas_syr_kernelILb0ELi1024EfPKfS1_PfEvimT2_lT3_lllT4_llli, .Lfunc_end3-_ZL18rocblas_syr_kernelILb0ELi1024EfPKfS1_PfEvimT2_lT3_lllT4_llli
                                        ; -- End function
	.set _ZL18rocblas_syr_kernelILb0ELi1024EfPKfS1_PfEvimT2_lT3_lllT4_llli.num_vgpr, 14
	.set _ZL18rocblas_syr_kernelILb0ELi1024EfPKfS1_PfEvimT2_lT3_lllT4_llli.num_agpr, 0
	.set _ZL18rocblas_syr_kernelILb0ELi1024EfPKfS1_PfEvimT2_lT3_lllT4_llli.numbered_sgpr, 32
	.set _ZL18rocblas_syr_kernelILb0ELi1024EfPKfS1_PfEvimT2_lT3_lllT4_llli.num_named_barrier, 0
	.set _ZL18rocblas_syr_kernelILb0ELi1024EfPKfS1_PfEvimT2_lT3_lllT4_llli.private_seg_size, 0
	.set _ZL18rocblas_syr_kernelILb0ELi1024EfPKfS1_PfEvimT2_lT3_lllT4_llli.uses_vcc, 1
	.set _ZL18rocblas_syr_kernelILb0ELi1024EfPKfS1_PfEvimT2_lT3_lllT4_llli.uses_flat_scratch, 0
	.set _ZL18rocblas_syr_kernelILb0ELi1024EfPKfS1_PfEvimT2_lT3_lllT4_llli.has_dyn_sized_stack, 0
	.set _ZL18rocblas_syr_kernelILb0ELi1024EfPKfS1_PfEvimT2_lT3_lllT4_llli.has_recursion, 0
	.set _ZL18rocblas_syr_kernelILb0ELi1024EfPKfS1_PfEvimT2_lT3_lllT4_llli.has_indirect_call, 0
	.section	.AMDGPU.csdata,"",@progbits
; Kernel info:
; codeLenInByte = 744
; TotalNumSgprs: 34
; NumVgprs: 14
; ScratchSize: 0
; MemoryBound: 0
; FloatMode: 240
; IeeeMode: 1
; LDSByteSize: 0 bytes/workgroup (compile time only)
; SGPRBlocks: 0
; VGPRBlocks: 0
; NumSGPRsForWavesPerEU: 34
; NumVGPRsForWavesPerEU: 14
; NamedBarCnt: 0
; Occupancy: 16
; WaveLimiterHint : 0
; COMPUTE_PGM_RSRC2:SCRATCH_EN: 0
; COMPUTE_PGM_RSRC2:USER_SGPR: 2
; COMPUTE_PGM_RSRC2:TRAP_HANDLER: 0
; COMPUTE_PGM_RSRC2:TGID_X_EN: 1
; COMPUTE_PGM_RSRC2:TGID_Y_EN: 0
; COMPUTE_PGM_RSRC2:TGID_Z_EN: 1
; COMPUTE_PGM_RSRC2:TIDIG_COMP_CNT: 0
	.section	.text._ZL23rocblas_syr_kernel_inc1ILb1ELi1024EffPKfPfEvimT2_lT3_llT4_llli,"axG",@progbits,_ZL23rocblas_syr_kernel_inc1ILb1ELi1024EffPKfPfEvimT2_lT3_llT4_llli,comdat
	.globl	_ZL23rocblas_syr_kernel_inc1ILb1ELi1024EffPKfPfEvimT2_lT3_llT4_llli ; -- Begin function _ZL23rocblas_syr_kernel_inc1ILb1ELi1024EffPKfPfEvimT2_lT3_llT4_llli
	.p2align	8
	.type	_ZL23rocblas_syr_kernel_inc1ILb1ELi1024EffPKfPfEvimT2_lT3_llT4_llli,@function
_ZL23rocblas_syr_kernel_inc1ILb1ELi1024EffPKfPfEvimT2_lT3_llT4_llli: ; @_ZL23rocblas_syr_kernel_inc1ILb1ELi1024EffPKfPfEvimT2_lT3_llT4_llli
; %bb.0:
	s_load_b32 s23, s[0:1], 0x58
	s_bfe_u32 s2, ttmp6, 0x40014
	s_lshr_b32 s3, ttmp7, 16
	s_add_co_i32 s2, s2, 1
	s_bfe_u32 s4, ttmp6, 0x40008
	s_mul_i32 s2, s3, s2
	s_getreg_b32 s24, hwreg(HW_REG_IB_STS2, 6, 4)
	s_add_co_i32 s4, s4, s2
	s_cmp_eq_u32 s24, 0
	s_cselect_b32 s2, s3, s4
	s_mov_b32 s3, 0
	s_wait_kmcnt 0x0
	s_cmp_ge_u32 s2, s23
	s_cbranch_scc1 .LBB4_7
; %bb.1:
	s_clause 0x2
	s_load_b256 s[4:11], s[0:1], 0x40
	s_load_b256 s[12:19], s[0:1], 0x20
	s_load_b96 s[20:22], s[0:1], 0x8
	v_mov_b32_e32 v1, 0
	s_wait_xcnt 0x0
	s_add_nc_u64 s[0:1], s[0:1], 0x60
	s_wait_kmcnt 0x0
	s_lshl_b64 s[4:5], s[4:5], 2
	s_lshl_b64 s[10:11], s[14:15], 2
	s_cmp_neq_f32 s22, 0
	s_add_nc_u64 s[4:5], s[18:19], s[4:5]
	s_add_nc_u64 s[10:11], s[12:13], s[10:11]
	s_cselect_b32 s14, -1, 0
	s_bfe_u32 s15, ttmp6, 0x4000c
	s_and_b32 s18, ttmp6, 15
	s_add_co_i32 s15, s15, 1
	s_delay_alu instid0(SALU_CYCLE_1) | instskip(NEXT) | instid1(SALU_CYCLE_1)
	s_mul_i32 s15, ttmp9, s15
	s_add_co_i32 s18, s18, s15
	s_cmp_eq_u32 s24, 0
	s_cselect_b32 s12, ttmp9, s18
	s_branch .LBB4_4
.LBB4_2:                                ;   in Loop: Header=BB4_4 Depth=1
	s_wait_xcnt 0x0
	s_or_b32 exec_lo, exec_lo, s13
.LBB4_3:                                ;   in Loop: Header=BB4_4 Depth=1
	s_add_co_i32 s2, s2, 0x10000
	s_delay_alu instid0(SALU_CYCLE_1)
	s_cmp_lt_u32 s2, s23
	s_cbranch_scc0 .LBB4_7
.LBB4_4:                                ; =>This Inner Loop Header: Depth=1
	s_and_not1_b32 vcc_lo, exec_lo, s14
	s_cbranch_vccnz .LBB4_3
; %bb.5:                                ;   in Loop: Header=BB4_4 Depth=1
	s_load_b32 s13, s[0:1], 0xc
	s_wait_kmcnt 0x0
	s_and_b32 s13, s13, 0xffff
	s_delay_alu instid0(SALU_CYCLE_1) | instskip(SKIP_1) | instid1(VALU_DEP_1)
	v_mad_nc_u64_u32 v[2:3], s13, s12, v[0:1]
	s_mov_b32 s13, exec_lo
	v_cmpx_gt_u64_e64 s[20:21], v[2:3]
	s_cbranch_execz .LBB4_2
; %bb.6:                                ;   in Loop: Header=BB4_4 Depth=1
	v_lshlrev_b64_e32 v[4:5], 3, v[2:3]
	s_mul_u64 s[18:19], s[8:9], s[2:3]
	s_mul_u64 s[24:25], s[16:17], s[2:3]
	s_lshl_b64 s[18:19], s[18:19], 2
	s_delay_alu instid0(SALU_CYCLE_1) | instskip(NEXT) | instid1(VALU_DEP_1)
	s_add_nc_u64 s[18:19], s[4:5], s[18:19]
	v_cvt_f64_u32_e32 v[6:7], v5
	s_delay_alu instid0(VALU_DEP_2) | instskip(NEXT) | instid1(VALU_DEP_1)
	v_or_b32_e32 v3, 1, v4
	v_cvt_f64_u32_e32 v[4:5], v3
	s_delay_alu instid0(VALU_DEP_3) | instskip(NEXT) | instid1(VALU_DEP_1)
	v_ldexp_f64 v[6:7], v[6:7], 32
	v_add_f64_e32 v[4:5], v[6:7], v[4:5]
	s_delay_alu instid0(VALU_DEP_1) | instskip(SKIP_1) | instid1(VALU_DEP_1)
	v_cmp_gt_f64_e32 vcc_lo, 0x10000000, v[4:5]
	v_cndmask_b32_e64 v3, 0, 0x100, vcc_lo
	v_ldexp_f64 v[4:5], v[4:5], v3
	v_cndmask_b32_e64 v3, 0, 0xffffff80, vcc_lo
	s_delay_alu instid0(VALU_DEP_2) | instskip(SKIP_1) | instid1(TRANS32_DEP_1)
	v_rsq_f64_e32 v[6:7], v[4:5]
	v_cmp_class_f64_e64 vcc_lo, v[4:5], 0x260
	v_mul_f64_e32 v[8:9], v[4:5], v[6:7]
	v_mul_f64_e32 v[6:7], 0.5, v[6:7]
	s_delay_alu instid0(VALU_DEP_1) | instskip(NEXT) | instid1(VALU_DEP_1)
	v_fma_f64 v[10:11], -v[6:7], v[8:9], 0.5
	v_fmac_f64_e32 v[8:9], v[8:9], v[10:11]
	v_fmac_f64_e32 v[6:7], v[6:7], v[10:11]
	s_delay_alu instid0(VALU_DEP_2) | instskip(NEXT) | instid1(VALU_DEP_1)
	v_fma_f64 v[10:11], -v[8:9], v[8:9], v[4:5]
	v_fmac_f64_e32 v[8:9], v[10:11], v[6:7]
	s_delay_alu instid0(VALU_DEP_1) | instskip(NEXT) | instid1(VALU_DEP_1)
	v_fma_f64 v[10:11], -v[8:9], v[8:9], v[4:5]
	v_fmac_f64_e32 v[8:9], v[10:11], v[6:7]
	s_delay_alu instid0(VALU_DEP_1) | instskip(NEXT) | instid1(VALU_DEP_1)
	v_ldexp_f64 v[6:7], v[8:9], v3
	v_dual_cndmask_b32 v5, v7, v5 :: v_dual_cndmask_b32 v4, v6, v4
	s_delay_alu instid0(VALU_DEP_1) | instskip(NEXT) | instid1(VALU_DEP_1)
	v_add_f64_e32 v[4:5], -1.0, v[4:5]
	v_mul_f64_e32 v[4:5], 0.5, v[4:5]
	s_delay_alu instid0(VALU_DEP_1) | instskip(NEXT) | instid1(VALU_DEP_1)
	v_cvt_i32_f64_e32 v4, v[4:5]
	v_ashrrev_i32_e32 v5, 31, v4
	v_mad_u32 v3, v4, v4, v4
	s_delay_alu instid0(VALU_DEP_2) | instskip(NEXT) | instid1(VALU_DEP_2)
	v_mul_u64_e32 v[6:7], s[6:7], v[4:5]
	v_lshrrev_b32_e32 v5, 31, v3
	s_delay_alu instid0(VALU_DEP_1) | instskip(NEXT) | instid1(VALU_DEP_1)
	v_add_nc_u32_e32 v3, v3, v5
	v_ashrrev_i32_e32 v3, 1, v3
	s_delay_alu instid0(VALU_DEP_1) | instskip(NEXT) | instid1(VALU_DEP_1)
	v_sub_nc_u32_e32 v2, v2, v3
	v_ashrrev_i32_e32 v3, 31, v2
	v_lshl_add_u64 v[6:7], v[6:7], 2, s[18:19]
	s_lshl_b64 s[18:19], s[24:25], 2
	s_delay_alu instid0(SALU_CYCLE_1) | instskip(NEXT) | instid1(VALU_DEP_1)
	s_add_nc_u64 s[18:19], s[10:11], s[18:19]
	v_lshl_add_u64 v[6:7], v[2:3], 2, v[6:7]
	s_clause 0x1
	global_load_b32 v3, v2, s[18:19] scale_offset
	global_load_b32 v5, v4, s[18:19] scale_offset
	global_load_b32 v8, v[6:7], off
	s_wait_loadcnt 0x2
	s_wait_xcnt 0x2
	v_mul_f32_e32 v2, s22, v3
	s_wait_loadcnt 0x0
	s_delay_alu instid0(VALU_DEP_1)
	v_fmac_f32_e32 v8, v2, v5
	global_store_b32 v[6:7], v8, off
	s_branch .LBB4_2
.LBB4_7:
	s_endpgm
	.section	.rodata,"a",@progbits
	.p2align	6, 0x0
	.amdhsa_kernel _ZL23rocblas_syr_kernel_inc1ILb1ELi1024EffPKfPfEvimT2_lT3_llT4_llli
		.amdhsa_group_segment_fixed_size 0
		.amdhsa_private_segment_fixed_size 0
		.amdhsa_kernarg_size 352
		.amdhsa_user_sgpr_count 2
		.amdhsa_user_sgpr_dispatch_ptr 0
		.amdhsa_user_sgpr_queue_ptr 0
		.amdhsa_user_sgpr_kernarg_segment_ptr 1
		.amdhsa_user_sgpr_dispatch_id 0
		.amdhsa_user_sgpr_kernarg_preload_length 0
		.amdhsa_user_sgpr_kernarg_preload_offset 0
		.amdhsa_user_sgpr_private_segment_size 0
		.amdhsa_wavefront_size32 1
		.amdhsa_uses_dynamic_stack 0
		.amdhsa_enable_private_segment 0
		.amdhsa_system_sgpr_workgroup_id_x 1
		.amdhsa_system_sgpr_workgroup_id_y 0
		.amdhsa_system_sgpr_workgroup_id_z 1
		.amdhsa_system_sgpr_workgroup_info 0
		.amdhsa_system_vgpr_workitem_id 0
		.amdhsa_next_free_vgpr 12
		.amdhsa_next_free_sgpr 26
		.amdhsa_named_barrier_count 0
		.amdhsa_reserve_vcc 1
		.amdhsa_float_round_mode_32 0
		.amdhsa_float_round_mode_16_64 0
		.amdhsa_float_denorm_mode_32 3
		.amdhsa_float_denorm_mode_16_64 3
		.amdhsa_fp16_overflow 0
		.amdhsa_memory_ordered 1
		.amdhsa_forward_progress 1
		.amdhsa_inst_pref_size 6
		.amdhsa_round_robin_scheduling 0
		.amdhsa_exception_fp_ieee_invalid_op 0
		.amdhsa_exception_fp_denorm_src 0
		.amdhsa_exception_fp_ieee_div_zero 0
		.amdhsa_exception_fp_ieee_overflow 0
		.amdhsa_exception_fp_ieee_underflow 0
		.amdhsa_exception_fp_ieee_inexact 0
		.amdhsa_exception_int_div_zero 0
	.end_amdhsa_kernel
	.section	.text._ZL23rocblas_syr_kernel_inc1ILb1ELi1024EffPKfPfEvimT2_lT3_llT4_llli,"axG",@progbits,_ZL23rocblas_syr_kernel_inc1ILb1ELi1024EffPKfPfEvimT2_lT3_llT4_llli,comdat
.Lfunc_end4:
	.size	_ZL23rocblas_syr_kernel_inc1ILb1ELi1024EffPKfPfEvimT2_lT3_llT4_llli, .Lfunc_end4-_ZL23rocblas_syr_kernel_inc1ILb1ELi1024EffPKfPfEvimT2_lT3_llT4_llli
                                        ; -- End function
	.set _ZL23rocblas_syr_kernel_inc1ILb1ELi1024EffPKfPfEvimT2_lT3_llT4_llli.num_vgpr, 12
	.set _ZL23rocblas_syr_kernel_inc1ILb1ELi1024EffPKfPfEvimT2_lT3_llT4_llli.num_agpr, 0
	.set _ZL23rocblas_syr_kernel_inc1ILb1ELi1024EffPKfPfEvimT2_lT3_llT4_llli.numbered_sgpr, 26
	.set _ZL23rocblas_syr_kernel_inc1ILb1ELi1024EffPKfPfEvimT2_lT3_llT4_llli.num_named_barrier, 0
	.set _ZL23rocblas_syr_kernel_inc1ILb1ELi1024EffPKfPfEvimT2_lT3_llT4_llli.private_seg_size, 0
	.set _ZL23rocblas_syr_kernel_inc1ILb1ELi1024EffPKfPfEvimT2_lT3_llT4_llli.uses_vcc, 1
	.set _ZL23rocblas_syr_kernel_inc1ILb1ELi1024EffPKfPfEvimT2_lT3_llT4_llli.uses_flat_scratch, 0
	.set _ZL23rocblas_syr_kernel_inc1ILb1ELi1024EffPKfPfEvimT2_lT3_llT4_llli.has_dyn_sized_stack, 0
	.set _ZL23rocblas_syr_kernel_inc1ILb1ELi1024EffPKfPfEvimT2_lT3_llT4_llli.has_recursion, 0
	.set _ZL23rocblas_syr_kernel_inc1ILb1ELi1024EffPKfPfEvimT2_lT3_llT4_llli.has_indirect_call, 0
	.section	.AMDGPU.csdata,"",@progbits
; Kernel info:
; codeLenInByte = 644
; TotalNumSgprs: 28
; NumVgprs: 12
; ScratchSize: 0
; MemoryBound: 0
; FloatMode: 240
; IeeeMode: 1
; LDSByteSize: 0 bytes/workgroup (compile time only)
; SGPRBlocks: 0
; VGPRBlocks: 0
; NumSGPRsForWavesPerEU: 28
; NumVGPRsForWavesPerEU: 12
; NamedBarCnt: 0
; Occupancy: 16
; WaveLimiterHint : 0
; COMPUTE_PGM_RSRC2:SCRATCH_EN: 0
; COMPUTE_PGM_RSRC2:USER_SGPR: 2
; COMPUTE_PGM_RSRC2:TRAP_HANDLER: 0
; COMPUTE_PGM_RSRC2:TGID_X_EN: 1
; COMPUTE_PGM_RSRC2:TGID_Y_EN: 0
; COMPUTE_PGM_RSRC2:TGID_Z_EN: 1
; COMPUTE_PGM_RSRC2:TIDIG_COMP_CNT: 0
	.section	.text._ZL18rocblas_syr_kernelILb1ELi1024EffPKfPfEvimT2_lT3_lllT4_llli,"axG",@progbits,_ZL18rocblas_syr_kernelILb1ELi1024EffPKfPfEvimT2_lT3_lllT4_llli,comdat
	.globl	_ZL18rocblas_syr_kernelILb1ELi1024EffPKfPfEvimT2_lT3_lllT4_llli ; -- Begin function _ZL18rocblas_syr_kernelILb1ELi1024EffPKfPfEvimT2_lT3_lllT4_llli
	.p2align	8
	.type	_ZL18rocblas_syr_kernelILb1ELi1024EffPKfPfEvimT2_lT3_lllT4_llli,@function
_ZL18rocblas_syr_kernelILb1ELi1024EffPKfPfEvimT2_lT3_lllT4_llli: ; @_ZL18rocblas_syr_kernelILb1ELi1024EffPKfPfEvimT2_lT3_lllT4_llli
; %bb.0:
	s_load_b32 s23, s[0:1], 0x60
	s_bfe_u32 s2, ttmp6, 0x40014
	s_lshr_b32 s3, ttmp7, 16
	s_add_co_i32 s2, s2, 1
	s_bfe_u32 s4, ttmp6, 0x40008
	s_mul_i32 s2, s3, s2
	s_getreg_b32 s24, hwreg(HW_REG_IB_STS2, 6, 4)
	s_add_co_i32 s4, s4, s2
	s_cmp_eq_u32 s24, 0
	s_cselect_b32 s2, s3, s4
	s_mov_b32 s3, 0
	s_wait_kmcnt 0x0
	s_cmp_ge_u32 s2, s23
	s_cbranch_scc1 .LBB5_7
; %bb.1:
	s_clause 0x1
	s_load_b512 s[4:19], s[0:1], 0x20
	s_load_b96 s[20:22], s[0:1], 0x8
	v_mov_b32_e32 v1, 0
	s_wait_xcnt 0x0
	s_add_nc_u64 s[0:1], s[0:1], 0x68
	s_wait_kmcnt 0x0
	s_lshl_b64 s[26:27], s[14:15], 2
	s_lshl_b64 s[28:29], s[6:7], 2
	s_cmp_neq_f32 s22, 0
	s_add_nc_u64 s[6:7], s[12:13], s[26:27]
	s_add_nc_u64 s[4:5], s[4:5], s[28:29]
	s_cselect_b32 s14, -1, 0
	s_bfe_u32 s15, ttmp6, 0x4000c
	s_and_b32 s12, ttmp6, 15
	s_add_co_i32 s15, s15, 1
	s_delay_alu instid0(SALU_CYCLE_1) | instskip(NEXT) | instid1(SALU_CYCLE_1)
	s_mul_i32 s13, ttmp9, s15
	s_add_co_i32 s12, s12, s13
	s_cmp_eq_u32 s24, 0
	s_cselect_b32 s12, ttmp9, s12
	s_branch .LBB5_4
.LBB5_2:                                ;   in Loop: Header=BB5_4 Depth=1
	s_wait_xcnt 0x0
	s_or_b32 exec_lo, exec_lo, s13
.LBB5_3:                                ;   in Loop: Header=BB5_4 Depth=1
	s_add_co_i32 s2, s2, 0x10000
	s_delay_alu instid0(SALU_CYCLE_1)
	s_cmp_lt_u32 s2, s23
	s_cbranch_scc0 .LBB5_7
.LBB5_4:                                ; =>This Inner Loop Header: Depth=1
	s_and_not1_b32 vcc_lo, exec_lo, s14
	s_cbranch_vccnz .LBB5_3
; %bb.5:                                ;   in Loop: Header=BB5_4 Depth=1
	s_load_b32 s13, s[0:1], 0xc
	s_wait_kmcnt 0x0
	s_and_b32 s13, s13, 0xffff
	s_delay_alu instid0(SALU_CYCLE_1) | instskip(SKIP_1) | instid1(VALU_DEP_1)
	v_mad_nc_u64_u32 v[2:3], s13, s12, v[0:1]
	s_mov_b32 s13, exec_lo
	v_cmpx_gt_u64_e64 s[20:21], v[2:3]
	s_cbranch_execz .LBB5_2
; %bb.6:                                ;   in Loop: Header=BB5_4 Depth=1
	v_lshlrev_b64_e32 v[4:5], 3, v[2:3]
	s_mul_u64 s[24:25], s[18:19], s[2:3]
	s_mul_u64 s[26:27], s[10:11], s[2:3]
	s_lshl_b64 s[24:25], s[24:25], 2
	s_lshl_b64 s[26:27], s[26:27], 2
	s_add_nc_u64 s[24:25], s[6:7], s[24:25]
	s_add_nc_u64 s[26:27], s[4:5], s[26:27]
	v_cvt_f64_u32_e32 v[6:7], v5
	v_or_b32_e32 v3, 1, v4
	s_delay_alu instid0(VALU_DEP_1) | instskip(NEXT) | instid1(VALU_DEP_3)
	v_cvt_f64_u32_e32 v[4:5], v3
	v_ldexp_f64 v[6:7], v[6:7], 32
	s_delay_alu instid0(VALU_DEP_1) | instskip(NEXT) | instid1(VALU_DEP_1)
	v_add_f64_e32 v[4:5], v[6:7], v[4:5]
	v_cmp_gt_f64_e32 vcc_lo, 0x10000000, v[4:5]
	v_cndmask_b32_e64 v3, 0, 0x100, vcc_lo
	s_delay_alu instid0(VALU_DEP_1) | instskip(SKIP_1) | instid1(VALU_DEP_2)
	v_ldexp_f64 v[4:5], v[4:5], v3
	v_cndmask_b32_e64 v3, 0, 0xffffff80, vcc_lo
	v_rsq_f64_e32 v[6:7], v[4:5]
	v_cmp_class_f64_e64 vcc_lo, v[4:5], 0x260
	s_delay_alu instid0(TRANS32_DEP_1) | instskip(SKIP_1) | instid1(VALU_DEP_1)
	v_mul_f64_e32 v[8:9], v[4:5], v[6:7]
	v_mul_f64_e32 v[6:7], 0.5, v[6:7]
	v_fma_f64 v[10:11], -v[6:7], v[8:9], 0.5
	s_delay_alu instid0(VALU_DEP_1) | instskip(SKIP_1) | instid1(VALU_DEP_2)
	v_fmac_f64_e32 v[8:9], v[8:9], v[10:11]
	v_fmac_f64_e32 v[6:7], v[6:7], v[10:11]
	v_fma_f64 v[10:11], -v[8:9], v[8:9], v[4:5]
	s_delay_alu instid0(VALU_DEP_1) | instskip(NEXT) | instid1(VALU_DEP_1)
	v_fmac_f64_e32 v[8:9], v[10:11], v[6:7]
	v_fma_f64 v[10:11], -v[8:9], v[8:9], v[4:5]
	s_delay_alu instid0(VALU_DEP_1) | instskip(NEXT) | instid1(VALU_DEP_1)
	v_fmac_f64_e32 v[8:9], v[10:11], v[6:7]
	v_ldexp_f64 v[6:7], v[8:9], v3
	s_delay_alu instid0(VALU_DEP_1) | instskip(NEXT) | instid1(VALU_DEP_1)
	v_dual_cndmask_b32 v5, v7, v5 :: v_dual_cndmask_b32 v4, v6, v4
	v_add_f64_e32 v[4:5], -1.0, v[4:5]
	s_delay_alu instid0(VALU_DEP_1) | instskip(NEXT) | instid1(VALU_DEP_1)
	v_mul_f64_e32 v[4:5], 0.5, v[4:5]
	v_cvt_i32_f64_e32 v4, v[4:5]
	s_delay_alu instid0(VALU_DEP_1) | instskip(NEXT) | instid1(VALU_DEP_1)
	v_mad_u32 v3, v4, v4, v4
	v_lshrrev_b32_e32 v5, 31, v3
	s_delay_alu instid0(VALU_DEP_1) | instskip(NEXT) | instid1(VALU_DEP_1)
	v_dual_add_nc_u32 v3, v3, v5 :: v_dual_ashrrev_i32 v5, 31, v4
	v_ashrrev_i32_e32 v3, 1, v3
	s_delay_alu instid0(VALU_DEP_2) | instskip(SKIP_1) | instid1(VALU_DEP_3)
	v_mul_u64_e32 v[6:7], s[16:17], v[4:5]
	v_mul_u64_e32 v[4:5], s[8:9], v[4:5]
	v_sub_nc_u32_e32 v2, v2, v3
	s_delay_alu instid0(VALU_DEP_1) | instskip(NEXT) | instid1(VALU_DEP_1)
	v_ashrrev_i32_e32 v3, 31, v2
	v_mul_u64_e32 v[8:9], s[8:9], v[2:3]
	v_lshl_add_u64 v[6:7], v[6:7], 2, s[24:25]
	v_lshl_add_u64 v[4:5], v[4:5], 2, s[26:27]
	s_delay_alu instid0(VALU_DEP_2) | instskip(NEXT) | instid1(VALU_DEP_4)
	v_lshl_add_u64 v[2:3], v[2:3], 2, v[6:7]
	v_lshl_add_u64 v[8:9], v[8:9], 2, s[26:27]
	s_clause 0x1
	global_load_b32 v6, v[8:9], off
	global_load_b32 v7, v[4:5], off
	;; [unrolled: 1-line block ×3, first 2 shown]
	s_wait_loadcnt 0x2
	s_wait_xcnt 0x1
	v_mul_f32_e32 v4, s22, v6
	s_wait_loadcnt 0x0
	s_delay_alu instid0(VALU_DEP_1)
	v_fmac_f32_e32 v10, v4, v7
	global_store_b32 v[2:3], v10, off
	s_branch .LBB5_2
.LBB5_7:
	s_endpgm
	.section	.rodata,"a",@progbits
	.p2align	6, 0x0
	.amdhsa_kernel _ZL18rocblas_syr_kernelILb1ELi1024EffPKfPfEvimT2_lT3_lllT4_llli
		.amdhsa_group_segment_fixed_size 0
		.amdhsa_private_segment_fixed_size 0
		.amdhsa_kernarg_size 360
		.amdhsa_user_sgpr_count 2
		.amdhsa_user_sgpr_dispatch_ptr 0
		.amdhsa_user_sgpr_queue_ptr 0
		.amdhsa_user_sgpr_kernarg_segment_ptr 1
		.amdhsa_user_sgpr_dispatch_id 0
		.amdhsa_user_sgpr_kernarg_preload_length 0
		.amdhsa_user_sgpr_kernarg_preload_offset 0
		.amdhsa_user_sgpr_private_segment_size 0
		.amdhsa_wavefront_size32 1
		.amdhsa_uses_dynamic_stack 0
		.amdhsa_enable_private_segment 0
		.amdhsa_system_sgpr_workgroup_id_x 1
		.amdhsa_system_sgpr_workgroup_id_y 0
		.amdhsa_system_sgpr_workgroup_id_z 1
		.amdhsa_system_sgpr_workgroup_info 0
		.amdhsa_system_vgpr_workitem_id 0
		.amdhsa_next_free_vgpr 12
		.amdhsa_next_free_sgpr 30
		.amdhsa_named_barrier_count 0
		.amdhsa_reserve_vcc 1
		.amdhsa_float_round_mode_32 0
		.amdhsa_float_round_mode_16_64 0
		.amdhsa_float_denorm_mode_32 3
		.amdhsa_float_denorm_mode_16_64 3
		.amdhsa_fp16_overflow 0
		.amdhsa_memory_ordered 1
		.amdhsa_forward_progress 1
		.amdhsa_inst_pref_size 6
		.amdhsa_round_robin_scheduling 0
		.amdhsa_exception_fp_ieee_invalid_op 0
		.amdhsa_exception_fp_denorm_src 0
		.amdhsa_exception_fp_ieee_div_zero 0
		.amdhsa_exception_fp_ieee_overflow 0
		.amdhsa_exception_fp_ieee_underflow 0
		.amdhsa_exception_fp_ieee_inexact 0
		.amdhsa_exception_int_div_zero 0
	.end_amdhsa_kernel
	.section	.text._ZL18rocblas_syr_kernelILb1ELi1024EffPKfPfEvimT2_lT3_lllT4_llli,"axG",@progbits,_ZL18rocblas_syr_kernelILb1ELi1024EffPKfPfEvimT2_lT3_lllT4_llli,comdat
.Lfunc_end5:
	.size	_ZL18rocblas_syr_kernelILb1ELi1024EffPKfPfEvimT2_lT3_lllT4_llli, .Lfunc_end5-_ZL18rocblas_syr_kernelILb1ELi1024EffPKfPfEvimT2_lT3_lllT4_llli
                                        ; -- End function
	.set _ZL18rocblas_syr_kernelILb1ELi1024EffPKfPfEvimT2_lT3_lllT4_llli.num_vgpr, 12
	.set _ZL18rocblas_syr_kernelILb1ELi1024EffPKfPfEvimT2_lT3_lllT4_llli.num_agpr, 0
	.set _ZL18rocblas_syr_kernelILb1ELi1024EffPKfPfEvimT2_lT3_lllT4_llli.numbered_sgpr, 30
	.set _ZL18rocblas_syr_kernelILb1ELi1024EffPKfPfEvimT2_lT3_lllT4_llli.num_named_barrier, 0
	.set _ZL18rocblas_syr_kernelILb1ELi1024EffPKfPfEvimT2_lT3_lllT4_llli.private_seg_size, 0
	.set _ZL18rocblas_syr_kernelILb1ELi1024EffPKfPfEvimT2_lT3_lllT4_llli.uses_vcc, 1
	.set _ZL18rocblas_syr_kernelILb1ELi1024EffPKfPfEvimT2_lT3_lllT4_llli.uses_flat_scratch, 0
	.set _ZL18rocblas_syr_kernelILb1ELi1024EffPKfPfEvimT2_lT3_lllT4_llli.has_dyn_sized_stack, 0
	.set _ZL18rocblas_syr_kernelILb1ELi1024EffPKfPfEvimT2_lT3_lllT4_llli.has_recursion, 0
	.set _ZL18rocblas_syr_kernelILb1ELi1024EffPKfPfEvimT2_lT3_lllT4_llli.has_indirect_call, 0
	.section	.AMDGPU.csdata,"",@progbits
; Kernel info:
; codeLenInByte = 660
; TotalNumSgprs: 32
; NumVgprs: 12
; ScratchSize: 0
; MemoryBound: 0
; FloatMode: 240
; IeeeMode: 1
; LDSByteSize: 0 bytes/workgroup (compile time only)
; SGPRBlocks: 0
; VGPRBlocks: 0
; NumSGPRsForWavesPerEU: 32
; NumVGPRsForWavesPerEU: 12
; NamedBarCnt: 0
; Occupancy: 16
; WaveLimiterHint : 0
; COMPUTE_PGM_RSRC2:SCRATCH_EN: 0
; COMPUTE_PGM_RSRC2:USER_SGPR: 2
; COMPUTE_PGM_RSRC2:TRAP_HANDLER: 0
; COMPUTE_PGM_RSRC2:TGID_X_EN: 1
; COMPUTE_PGM_RSRC2:TGID_Y_EN: 0
; COMPUTE_PGM_RSRC2:TGID_Z_EN: 1
; COMPUTE_PGM_RSRC2:TIDIG_COMP_CNT: 0
	.section	.text._ZL23rocblas_syr_kernel_inc1ILb0ELi1024EffPKfPfEvimT2_lT3_llT4_llli,"axG",@progbits,_ZL23rocblas_syr_kernel_inc1ILb0ELi1024EffPKfPfEvimT2_lT3_llT4_llli,comdat
	.globl	_ZL23rocblas_syr_kernel_inc1ILb0ELi1024EffPKfPfEvimT2_lT3_llT4_llli ; -- Begin function _ZL23rocblas_syr_kernel_inc1ILb0ELi1024EffPKfPfEvimT2_lT3_llT4_llli
	.p2align	8
	.type	_ZL23rocblas_syr_kernel_inc1ILb0ELi1024EffPKfPfEvimT2_lT3_llT4_llli,@function
_ZL23rocblas_syr_kernel_inc1ILb0ELi1024EffPKfPfEvimT2_lT3_llT4_llli: ; @_ZL23rocblas_syr_kernel_inc1ILb0ELi1024EffPKfPfEvimT2_lT3_llT4_llli
; %bb.0:
	s_load_b32 s23, s[0:1], 0x58
	s_bfe_u32 s2, ttmp6, 0x40014
	s_lshr_b32 s3, ttmp7, 16
	s_add_co_i32 s2, s2, 1
	s_bfe_u32 s4, ttmp6, 0x40008
	s_mul_i32 s2, s3, s2
	s_getreg_b32 s26, hwreg(HW_REG_IB_STS2, 6, 4)
	s_add_co_i32 s4, s4, s2
	s_cmp_eq_u32 s26, 0
	s_cselect_b32 s2, s3, s4
	s_mov_b32 s3, 0
	s_wait_kmcnt 0x0
	s_cmp_ge_u32 s2, s23
	s_cbranch_scc1 .LBB6_7
; %bb.1:
	s_clause 0x3
	s_load_b32 s24, s[0:1], 0x0
	s_load_b256 s[4:11], s[0:1], 0x40
	s_load_b256 s[12:19], s[0:1], 0x20
	s_load_b96 s[20:22], s[0:1], 0x8
	v_mov_b32_e32 v1, 0
	s_wait_xcnt 0x0
	s_add_nc_u64 s[0:1], s[0:1], 0x60
	s_wait_kmcnt 0x0
	s_ashr_i32 s25, s24, 31
	s_lshl_b64 s[4:5], s[4:5], 2
	s_lshl_b64 s[10:11], s[14:15], 2
	s_cmp_neq_f32 s22, 0
	s_add_nc_u64 s[4:5], s[18:19], s[4:5]
	s_add_nc_u64 s[10:11], s[12:13], s[10:11]
	s_cselect_b32 s14, -1, 0
	s_bfe_u32 s15, ttmp6, 0x4000c
	s_and_b32 s18, ttmp6, 15
	s_add_co_i32 s15, s15, 1
	s_delay_alu instid0(SALU_CYCLE_1) | instskip(NEXT) | instid1(SALU_CYCLE_1)
	s_mul_i32 s15, ttmp9, s15
	s_add_co_i32 s18, s18, s15
	s_cmp_eq_u32 s26, 0
	s_cselect_b32 s12, ttmp9, s18
	s_add_co_i32 s13, s24, -1
	s_branch .LBB6_4
.LBB6_2:                                ;   in Loop: Header=BB6_4 Depth=1
	s_wait_xcnt 0x0
	s_or_b32 exec_lo, exec_lo, s15
.LBB6_3:                                ;   in Loop: Header=BB6_4 Depth=1
	s_add_co_i32 s2, s2, 0x10000
	s_delay_alu instid0(SALU_CYCLE_1)
	s_cmp_lt_u32 s2, s23
	s_cbranch_scc0 .LBB6_7
.LBB6_4:                                ; =>This Inner Loop Header: Depth=1
	s_and_not1_b32 vcc_lo, exec_lo, s14
	s_cbranch_vccnz .LBB6_3
; %bb.5:                                ;   in Loop: Header=BB6_4 Depth=1
	s_load_b32 s15, s[0:1], 0xc
	s_wait_kmcnt 0x0
	s_and_b32 s15, s15, 0xffff
	s_delay_alu instid0(SALU_CYCLE_1) | instskip(SKIP_1) | instid1(VALU_DEP_1)
	v_mad_nc_u64_u32 v[2:3], s15, s12, v[0:1]
	s_mov_b32 s15, exec_lo
	v_cmpx_gt_u64_e64 s[20:21], v[2:3]
	s_cbranch_execz .LBB6_2
; %bb.6:                                ;   in Loop: Header=BB6_4 Depth=1
	v_not_b32_e32 v3, v3
	v_not_b32_e32 v2, v2
	s_mul_u64 s[18:19], s[8:9], s[2:3]
	s_mul_u64 s[26:27], s[16:17], s[2:3]
	s_lshl_b64 s[18:19], s[18:19], 2
	s_lshl_b64 s[26:27], s[26:27], 2
	v_add_nc_u64_e32 v[2:3], s[20:21], v[2:3]
	s_add_nc_u64 s[18:19], s[4:5], s[18:19]
	s_delay_alu instid0(VALU_DEP_1) | instskip(SKIP_1) | instid1(VALU_DEP_2)
	v_lshlrev_b64_e32 v[4:5], 3, v[2:3]
	v_sub_nc_u32_e32 v2, s13, v2
	v_cvt_f64_u32_e32 v[6:7], v5
	s_delay_alu instid0(VALU_DEP_3) | instskip(NEXT) | instid1(VALU_DEP_1)
	v_or_b32_e32 v3, 1, v4
	v_cvt_f64_u32_e32 v[4:5], v3
	s_delay_alu instid0(VALU_DEP_3) | instskip(NEXT) | instid1(VALU_DEP_1)
	v_ldexp_f64 v[6:7], v[6:7], 32
	v_add_f64_e32 v[4:5], v[6:7], v[4:5]
	s_delay_alu instid0(VALU_DEP_1) | instskip(SKIP_1) | instid1(VALU_DEP_1)
	v_cmp_gt_f64_e32 vcc_lo, 0x10000000, v[4:5]
	v_cndmask_b32_e64 v3, 0, 0x100, vcc_lo
	v_ldexp_f64 v[4:5], v[4:5], v3
	v_cndmask_b32_e64 v3, 0, 0xffffff80, vcc_lo
	s_delay_alu instid0(VALU_DEP_2) | instskip(SKIP_1) | instid1(TRANS32_DEP_1)
	v_rsq_f64_e32 v[6:7], v[4:5]
	v_cmp_class_f64_e64 vcc_lo, v[4:5], 0x260
	v_mul_f64_e32 v[8:9], v[4:5], v[6:7]
	v_mul_f64_e32 v[6:7], 0.5, v[6:7]
	s_delay_alu instid0(VALU_DEP_1) | instskip(NEXT) | instid1(VALU_DEP_1)
	v_fma_f64 v[10:11], -v[6:7], v[8:9], 0.5
	v_fmac_f64_e32 v[8:9], v[8:9], v[10:11]
	v_fmac_f64_e32 v[6:7], v[6:7], v[10:11]
	s_delay_alu instid0(VALU_DEP_2) | instskip(NEXT) | instid1(VALU_DEP_1)
	v_fma_f64 v[10:11], -v[8:9], v[8:9], v[4:5]
	v_fmac_f64_e32 v[8:9], v[10:11], v[6:7]
	s_delay_alu instid0(VALU_DEP_1) | instskip(NEXT) | instid1(VALU_DEP_1)
	v_fma_f64 v[10:11], -v[8:9], v[8:9], v[4:5]
	v_fmac_f64_e32 v[8:9], v[10:11], v[6:7]
	s_delay_alu instid0(VALU_DEP_1) | instskip(NEXT) | instid1(VALU_DEP_1)
	v_ldexp_f64 v[6:7], v[8:9], v3
	v_dual_cndmask_b32 v5, v7, v5 :: v_dual_cndmask_b32 v4, v6, v4
	s_delay_alu instid0(VALU_DEP_1) | instskip(NEXT) | instid1(VALU_DEP_1)
	v_add_f64_e32 v[4:5], -1.0, v[4:5]
	v_mul_f64_e32 v[4:5], 0.5, v[4:5]
	s_delay_alu instid0(VALU_DEP_1) | instskip(NEXT) | instid1(VALU_DEP_1)
	v_cvt_i32_f64_e32 v4, v[4:5]
	v_mad_u32 v3, v4, v4, v4
	s_delay_alu instid0(VALU_DEP_1) | instskip(NEXT) | instid1(VALU_DEP_1)
	v_dual_sub_nc_u32 v6, s13, v4 :: v_dual_lshrrev_b32 v5, 31, v3
	v_dual_add_nc_u32 v3, v3, v5 :: v_dual_ashrrev_i32 v5, 31, v4
	s_delay_alu instid0(VALU_DEP_1) | instskip(NEXT) | instid1(VALU_DEP_2)
	v_dual_ashrrev_i32 v7, 31, v6 :: v_dual_ashrrev_i32 v3, 1, v3
	v_sub_nc_u64_e32 v[4:5], s[24:25], v[4:5]
	s_delay_alu instid0(VALU_DEP_2) | instskip(NEXT) | instid1(VALU_DEP_3)
	v_mul_u64_e32 v[6:7], s[6:7], v[6:7]
	v_add_nc_u32_e32 v2, v2, v3
	s_delay_alu instid0(VALU_DEP_1) | instskip(NEXT) | instid1(VALU_DEP_3)
	v_ashrrev_i32_e32 v3, 31, v2
	v_lshl_add_u64 v[6:7], v[6:7], 2, s[18:19]
	s_add_nc_u64 s[18:19], s[10:11], s[26:27]
	s_delay_alu instid0(SALU_CYCLE_1) | instskip(NEXT) | instid1(VALU_DEP_2)
	v_lshl_add_u64 v[4:5], v[4:5], 2, s[18:19]
	v_lshl_add_u64 v[6:7], v[2:3], 2, v[6:7]
	s_clause 0x1
	global_load_b32 v3, v2, s[18:19] scale_offset
	global_load_b32 v8, v[4:5], off offset:-4
	global_load_b32 v9, v[6:7], off
	s_wait_loadcnt 0x2
	s_wait_xcnt 0x2
	v_mul_f32_e32 v2, s22, v3
	s_wait_loadcnt 0x0
	s_delay_alu instid0(VALU_DEP_1)
	v_fmac_f32_e32 v9, v2, v8
	global_store_b32 v[6:7], v9, off
	s_branch .LBB6_2
.LBB6_7:
	s_endpgm
	.section	.rodata,"a",@progbits
	.p2align	6, 0x0
	.amdhsa_kernel _ZL23rocblas_syr_kernel_inc1ILb0ELi1024EffPKfPfEvimT2_lT3_llT4_llli
		.amdhsa_group_segment_fixed_size 0
		.amdhsa_private_segment_fixed_size 0
		.amdhsa_kernarg_size 352
		.amdhsa_user_sgpr_count 2
		.amdhsa_user_sgpr_dispatch_ptr 0
		.amdhsa_user_sgpr_queue_ptr 0
		.amdhsa_user_sgpr_kernarg_segment_ptr 1
		.amdhsa_user_sgpr_dispatch_id 0
		.amdhsa_user_sgpr_kernarg_preload_length 0
		.amdhsa_user_sgpr_kernarg_preload_offset 0
		.amdhsa_user_sgpr_private_segment_size 0
		.amdhsa_wavefront_size32 1
		.amdhsa_uses_dynamic_stack 0
		.amdhsa_enable_private_segment 0
		.amdhsa_system_sgpr_workgroup_id_x 1
		.amdhsa_system_sgpr_workgroup_id_y 0
		.amdhsa_system_sgpr_workgroup_id_z 1
		.amdhsa_system_sgpr_workgroup_info 0
		.amdhsa_system_vgpr_workitem_id 0
		.amdhsa_next_free_vgpr 12
		.amdhsa_next_free_sgpr 28
		.amdhsa_named_barrier_count 0
		.amdhsa_reserve_vcc 1
		.amdhsa_float_round_mode_32 0
		.amdhsa_float_round_mode_16_64 0
		.amdhsa_float_denorm_mode_32 3
		.amdhsa_float_denorm_mode_16_64 3
		.amdhsa_fp16_overflow 0
		.amdhsa_memory_ordered 1
		.amdhsa_forward_progress 1
		.amdhsa_inst_pref_size 6
		.amdhsa_round_robin_scheduling 0
		.amdhsa_exception_fp_ieee_invalid_op 0
		.amdhsa_exception_fp_denorm_src 0
		.amdhsa_exception_fp_ieee_div_zero 0
		.amdhsa_exception_fp_ieee_overflow 0
		.amdhsa_exception_fp_ieee_underflow 0
		.amdhsa_exception_fp_ieee_inexact 0
		.amdhsa_exception_int_div_zero 0
	.end_amdhsa_kernel
	.section	.text._ZL23rocblas_syr_kernel_inc1ILb0ELi1024EffPKfPfEvimT2_lT3_llT4_llli,"axG",@progbits,_ZL23rocblas_syr_kernel_inc1ILb0ELi1024EffPKfPfEvimT2_lT3_llT4_llli,comdat
.Lfunc_end6:
	.size	_ZL23rocblas_syr_kernel_inc1ILb0ELi1024EffPKfPfEvimT2_lT3_llT4_llli, .Lfunc_end6-_ZL23rocblas_syr_kernel_inc1ILb0ELi1024EffPKfPfEvimT2_lT3_llT4_llli
                                        ; -- End function
	.set _ZL23rocblas_syr_kernel_inc1ILb0ELi1024EffPKfPfEvimT2_lT3_llT4_llli.num_vgpr, 12
	.set _ZL23rocblas_syr_kernel_inc1ILb0ELi1024EffPKfPfEvimT2_lT3_llT4_llli.num_agpr, 0
	.set _ZL23rocblas_syr_kernel_inc1ILb0ELi1024EffPKfPfEvimT2_lT3_llT4_llli.numbered_sgpr, 28
	.set _ZL23rocblas_syr_kernel_inc1ILb0ELi1024EffPKfPfEvimT2_lT3_llT4_llli.num_named_barrier, 0
	.set _ZL23rocblas_syr_kernel_inc1ILb0ELi1024EffPKfPfEvimT2_lT3_llT4_llli.private_seg_size, 0
	.set _ZL23rocblas_syr_kernel_inc1ILb0ELi1024EffPKfPfEvimT2_lT3_llT4_llli.uses_vcc, 1
	.set _ZL23rocblas_syr_kernel_inc1ILb0ELi1024EffPKfPfEvimT2_lT3_llT4_llli.uses_flat_scratch, 0
	.set _ZL23rocblas_syr_kernel_inc1ILb0ELi1024EffPKfPfEvimT2_lT3_llT4_llli.has_dyn_sized_stack, 0
	.set _ZL23rocblas_syr_kernel_inc1ILb0ELi1024EffPKfPfEvimT2_lT3_llT4_llli.has_recursion, 0
	.set _ZL23rocblas_syr_kernel_inc1ILb0ELi1024EffPKfPfEvimT2_lT3_llT4_llli.has_indirect_call, 0
	.section	.AMDGPU.csdata,"",@progbits
; Kernel info:
; codeLenInByte = 712
; TotalNumSgprs: 30
; NumVgprs: 12
; ScratchSize: 0
; MemoryBound: 0
; FloatMode: 240
; IeeeMode: 1
; LDSByteSize: 0 bytes/workgroup (compile time only)
; SGPRBlocks: 0
; VGPRBlocks: 0
; NumSGPRsForWavesPerEU: 30
; NumVGPRsForWavesPerEU: 12
; NamedBarCnt: 0
; Occupancy: 16
; WaveLimiterHint : 0
; COMPUTE_PGM_RSRC2:SCRATCH_EN: 0
; COMPUTE_PGM_RSRC2:USER_SGPR: 2
; COMPUTE_PGM_RSRC2:TRAP_HANDLER: 0
; COMPUTE_PGM_RSRC2:TGID_X_EN: 1
; COMPUTE_PGM_RSRC2:TGID_Y_EN: 0
; COMPUTE_PGM_RSRC2:TGID_Z_EN: 1
; COMPUTE_PGM_RSRC2:TIDIG_COMP_CNT: 0
	.section	.text._ZL18rocblas_syr_kernelILb0ELi1024EffPKfPfEvimT2_lT3_lllT4_llli,"axG",@progbits,_ZL18rocblas_syr_kernelILb0ELi1024EffPKfPfEvimT2_lT3_lllT4_llli,comdat
	.globl	_ZL18rocblas_syr_kernelILb0ELi1024EffPKfPfEvimT2_lT3_lllT4_llli ; -- Begin function _ZL18rocblas_syr_kernelILb0ELi1024EffPKfPfEvimT2_lT3_lllT4_llli
	.p2align	8
	.type	_ZL18rocblas_syr_kernelILb0ELi1024EffPKfPfEvimT2_lT3_lllT4_llli,@function
_ZL18rocblas_syr_kernelILb0ELi1024EffPKfPfEvimT2_lT3_lllT4_llli: ; @_ZL18rocblas_syr_kernelILb0ELi1024EffPKfPfEvimT2_lT3_lllT4_llli
; %bb.0:
	s_load_b32 s23, s[0:1], 0x60
	s_bfe_u32 s2, ttmp6, 0x40014
	s_lshr_b32 s3, ttmp7, 16
	s_add_co_i32 s2, s2, 1
	s_bfe_u32 s4, ttmp6, 0x40008
	s_mul_i32 s2, s3, s2
	s_getreg_b32 s24, hwreg(HW_REG_IB_STS2, 6, 4)
	s_add_co_i32 s4, s4, s2
	s_cmp_eq_u32 s24, 0
	s_cselect_b32 s2, s3, s4
	s_mov_b32 s3, 0
	s_wait_kmcnt 0x0
	s_cmp_ge_u32 s2, s23
	s_cbranch_scc1 .LBB7_7
; %bb.1:
	s_clause 0x2
	s_load_b512 s[4:19], s[0:1], 0x20
	s_load_b96 s[20:22], s[0:1], 0x8
	s_load_b32 s25, s[0:1], 0x0
	v_mov_b32_e32 v1, 0
	s_wait_xcnt 0x0
	s_add_nc_u64 s[0:1], s[0:1], 0x68
	s_wait_kmcnt 0x0
	s_lshl_b64 s[26:27], s[14:15], 2
	s_lshl_b64 s[28:29], s[6:7], 2
	s_cmp_neq_f32 s22, 0
	s_add_nc_u64 s[6:7], s[12:13], s[26:27]
	s_add_nc_u64 s[4:5], s[4:5], s[28:29]
	s_cselect_b32 s14, -1, 0
	s_bfe_u32 s15, ttmp6, 0x4000c
	s_and_b32 s12, ttmp6, 15
	s_add_co_i32 s15, s15, 1
	s_delay_alu instid0(SALU_CYCLE_1) | instskip(NEXT) | instid1(SALU_CYCLE_1)
	s_mul_i32 s13, ttmp9, s15
	s_add_co_i32 s12, s12, s13
	s_cmp_eq_u32 s24, 0
	s_cselect_b32 s12, ttmp9, s12
	s_add_co_i32 s13, s25, -1
	s_branch .LBB7_4
.LBB7_2:                                ;   in Loop: Header=BB7_4 Depth=1
	s_wait_xcnt 0x0
	s_or_b32 exec_lo, exec_lo, s15
.LBB7_3:                                ;   in Loop: Header=BB7_4 Depth=1
	s_add_co_i32 s2, s2, 0x10000
	s_delay_alu instid0(SALU_CYCLE_1)
	s_cmp_lt_u32 s2, s23
	s_cbranch_scc0 .LBB7_7
.LBB7_4:                                ; =>This Inner Loop Header: Depth=1
	s_and_not1_b32 vcc_lo, exec_lo, s14
	s_cbranch_vccnz .LBB7_3
; %bb.5:                                ;   in Loop: Header=BB7_4 Depth=1
	s_load_b32 s15, s[0:1], 0xc
	s_wait_kmcnt 0x0
	s_and_b32 s15, s15, 0xffff
	s_delay_alu instid0(SALU_CYCLE_1) | instskip(SKIP_1) | instid1(VALU_DEP_1)
	v_mad_nc_u64_u32 v[2:3], s15, s12, v[0:1]
	s_mov_b32 s15, exec_lo
	v_cmpx_gt_u64_e64 s[20:21], v[2:3]
	s_cbranch_execz .LBB7_2
; %bb.6:                                ;   in Loop: Header=BB7_4 Depth=1
	v_not_b32_e32 v3, v3
	v_not_b32_e32 v2, v2
	s_mul_u64 s[24:25], s[18:19], s[2:3]
	s_mul_u64 s[26:27], s[10:11], s[2:3]
	s_lshl_b64 s[24:25], s[24:25], 2
	s_lshl_b64 s[26:27], s[26:27], 2
	v_add_nc_u64_e32 v[2:3], s[20:21], v[2:3]
	s_add_nc_u64 s[24:25], s[6:7], s[24:25]
	s_add_nc_u64 s[26:27], s[4:5], s[26:27]
	s_delay_alu instid0(VALU_DEP_1) | instskip(NEXT) | instid1(VALU_DEP_1)
	v_lshlrev_b64_e32 v[4:5], 3, v[2:3]
	v_cvt_f64_u32_e32 v[6:7], v5
	s_delay_alu instid0(VALU_DEP_2) | instskip(NEXT) | instid1(VALU_DEP_1)
	v_or_b32_e32 v3, 1, v4
	v_cvt_f64_u32_e32 v[4:5], v3
	s_delay_alu instid0(VALU_DEP_3) | instskip(NEXT) | instid1(VALU_DEP_1)
	v_ldexp_f64 v[6:7], v[6:7], 32
	v_add_f64_e32 v[4:5], v[6:7], v[4:5]
	s_delay_alu instid0(VALU_DEP_1) | instskip(SKIP_1) | instid1(VALU_DEP_1)
	v_cmp_gt_f64_e32 vcc_lo, 0x10000000, v[4:5]
	v_cndmask_b32_e64 v3, 0, 0x100, vcc_lo
	v_ldexp_f64 v[4:5], v[4:5], v3
	v_cndmask_b32_e64 v3, 0, 0xffffff80, vcc_lo
	s_delay_alu instid0(VALU_DEP_2) | instskip(SKIP_1) | instid1(TRANS32_DEP_1)
	v_rsq_f64_e32 v[6:7], v[4:5]
	v_cmp_class_f64_e64 vcc_lo, v[4:5], 0x260
	v_mul_f64_e32 v[8:9], v[4:5], v[6:7]
	v_mul_f64_e32 v[6:7], 0.5, v[6:7]
	s_delay_alu instid0(VALU_DEP_1) | instskip(NEXT) | instid1(VALU_DEP_1)
	v_fma_f64 v[10:11], -v[6:7], v[8:9], 0.5
	v_fmac_f64_e32 v[8:9], v[8:9], v[10:11]
	v_fmac_f64_e32 v[6:7], v[6:7], v[10:11]
	s_delay_alu instid0(VALU_DEP_2) | instskip(NEXT) | instid1(VALU_DEP_1)
	v_fma_f64 v[10:11], -v[8:9], v[8:9], v[4:5]
	v_fmac_f64_e32 v[8:9], v[10:11], v[6:7]
	s_delay_alu instid0(VALU_DEP_1) | instskip(NEXT) | instid1(VALU_DEP_1)
	v_fma_f64 v[10:11], -v[8:9], v[8:9], v[4:5]
	v_fmac_f64_e32 v[8:9], v[10:11], v[6:7]
	s_delay_alu instid0(VALU_DEP_1) | instskip(NEXT) | instid1(VALU_DEP_1)
	v_ldexp_f64 v[6:7], v[8:9], v3
	v_dual_cndmask_b32 v5, v7, v5 :: v_dual_cndmask_b32 v4, v6, v4
	s_delay_alu instid0(VALU_DEP_1) | instskip(NEXT) | instid1(VALU_DEP_1)
	v_add_f64_e32 v[4:5], -1.0, v[4:5]
	v_mul_f64_e32 v[4:5], 0.5, v[4:5]
	s_delay_alu instid0(VALU_DEP_1) | instskip(NEXT) | instid1(VALU_DEP_1)
	v_cvt_i32_f64_e32 v3, v[4:5]
	v_mad_u32 v4, v3, v3, v3
	s_delay_alu instid0(VALU_DEP_1) | instskip(NEXT) | instid1(VALU_DEP_1)
	v_lshrrev_b32_e32 v5, 31, v4
	v_dual_add_nc_u32 v4, v4, v5 :: v_dual_sub_nc_u32 v5, s13, v2
	s_delay_alu instid0(VALU_DEP_1) | instskip(NEXT) | instid1(VALU_DEP_1)
	v_dual_sub_nc_u32 v2, s13, v3 :: v_dual_ashrrev_i32 v4, 1, v4
	v_dual_ashrrev_i32 v3, 31, v2 :: v_dual_add_nc_u32 v4, v5, v4
	s_delay_alu instid0(VALU_DEP_1) | instskip(SKIP_1) | instid1(VALU_DEP_3)
	v_mul_u64_e32 v[6:7], s[16:17], v[2:3]
	v_mul_u64_e32 v[2:3], s[8:9], v[2:3]
	v_ashrrev_i32_e32 v5, 31, v4
	s_delay_alu instid0(VALU_DEP_1) | instskip(NEXT) | instid1(VALU_DEP_4)
	v_mul_u64_e32 v[8:9], s[8:9], v[4:5]
	v_lshl_add_u64 v[6:7], v[6:7], 2, s[24:25]
	s_delay_alu instid0(VALU_DEP_4) | instskip(NEXT) | instid1(VALU_DEP_2)
	v_lshl_add_u64 v[2:3], v[2:3], 2, s[26:27]
	v_lshl_add_u64 v[4:5], v[4:5], 2, v[6:7]
	s_delay_alu instid0(VALU_DEP_4)
	v_lshl_add_u64 v[8:9], v[8:9], 2, s[26:27]
	s_clause 0x1
	global_load_b32 v6, v[8:9], off
	global_load_b32 v7, v[2:3], off
	;; [unrolled: 1-line block ×3, first 2 shown]
	s_wait_loadcnt 0x2
	s_wait_xcnt 0x1
	v_mul_f32_e32 v2, s22, v6
	s_wait_loadcnt 0x0
	s_delay_alu instid0(VALU_DEP_1)
	v_fmac_f32_e32 v10, v2, v7
	global_store_b32 v[4:5], v10, off
	s_branch .LBB7_2
.LBB7_7:
	s_endpgm
	.section	.rodata,"a",@progbits
	.p2align	6, 0x0
	.amdhsa_kernel _ZL18rocblas_syr_kernelILb0ELi1024EffPKfPfEvimT2_lT3_lllT4_llli
		.amdhsa_group_segment_fixed_size 0
		.amdhsa_private_segment_fixed_size 0
		.amdhsa_kernarg_size 360
		.amdhsa_user_sgpr_count 2
		.amdhsa_user_sgpr_dispatch_ptr 0
		.amdhsa_user_sgpr_queue_ptr 0
		.amdhsa_user_sgpr_kernarg_segment_ptr 1
		.amdhsa_user_sgpr_dispatch_id 0
		.amdhsa_user_sgpr_kernarg_preload_length 0
		.amdhsa_user_sgpr_kernarg_preload_offset 0
		.amdhsa_user_sgpr_private_segment_size 0
		.amdhsa_wavefront_size32 1
		.amdhsa_uses_dynamic_stack 0
		.amdhsa_enable_private_segment 0
		.amdhsa_system_sgpr_workgroup_id_x 1
		.amdhsa_system_sgpr_workgroup_id_y 0
		.amdhsa_system_sgpr_workgroup_id_z 1
		.amdhsa_system_sgpr_workgroup_info 0
		.amdhsa_system_vgpr_workitem_id 0
		.amdhsa_next_free_vgpr 12
		.amdhsa_next_free_sgpr 30
		.amdhsa_named_barrier_count 0
		.amdhsa_reserve_vcc 1
		.amdhsa_float_round_mode_32 0
		.amdhsa_float_round_mode_16_64 0
		.amdhsa_float_denorm_mode_32 3
		.amdhsa_float_denorm_mode_16_64 3
		.amdhsa_fp16_overflow 0
		.amdhsa_memory_ordered 1
		.amdhsa_forward_progress 1
		.amdhsa_inst_pref_size 6
		.amdhsa_round_robin_scheduling 0
		.amdhsa_exception_fp_ieee_invalid_op 0
		.amdhsa_exception_fp_denorm_src 0
		.amdhsa_exception_fp_ieee_div_zero 0
		.amdhsa_exception_fp_ieee_overflow 0
		.amdhsa_exception_fp_ieee_underflow 0
		.amdhsa_exception_fp_ieee_inexact 0
		.amdhsa_exception_int_div_zero 0
	.end_amdhsa_kernel
	.section	.text._ZL18rocblas_syr_kernelILb0ELi1024EffPKfPfEvimT2_lT3_lllT4_llli,"axG",@progbits,_ZL18rocblas_syr_kernelILb0ELi1024EffPKfPfEvimT2_lT3_lllT4_llli,comdat
.Lfunc_end7:
	.size	_ZL18rocblas_syr_kernelILb0ELi1024EffPKfPfEvimT2_lT3_lllT4_llli, .Lfunc_end7-_ZL18rocblas_syr_kernelILb0ELi1024EffPKfPfEvimT2_lT3_lllT4_llli
                                        ; -- End function
	.set _ZL18rocblas_syr_kernelILb0ELi1024EffPKfPfEvimT2_lT3_lllT4_llli.num_vgpr, 12
	.set _ZL18rocblas_syr_kernelILb0ELi1024EffPKfPfEvimT2_lT3_lllT4_llli.num_agpr, 0
	.set _ZL18rocblas_syr_kernelILb0ELi1024EffPKfPfEvimT2_lT3_lllT4_llli.numbered_sgpr, 30
	.set _ZL18rocblas_syr_kernelILb0ELi1024EffPKfPfEvimT2_lT3_lllT4_llli.num_named_barrier, 0
	.set _ZL18rocblas_syr_kernelILb0ELi1024EffPKfPfEvimT2_lT3_lllT4_llli.private_seg_size, 0
	.set _ZL18rocblas_syr_kernelILb0ELi1024EffPKfPfEvimT2_lT3_lllT4_llli.uses_vcc, 1
	.set _ZL18rocblas_syr_kernelILb0ELi1024EffPKfPfEvimT2_lT3_lllT4_llli.uses_flat_scratch, 0
	.set _ZL18rocblas_syr_kernelILb0ELi1024EffPKfPfEvimT2_lT3_lllT4_llli.has_dyn_sized_stack, 0
	.set _ZL18rocblas_syr_kernelILb0ELi1024EffPKfPfEvimT2_lT3_lllT4_llli.has_recursion, 0
	.set _ZL18rocblas_syr_kernelILb0ELi1024EffPKfPfEvimT2_lT3_lllT4_llli.has_indirect_call, 0
	.section	.AMDGPU.csdata,"",@progbits
; Kernel info:
; codeLenInByte = 712
; TotalNumSgprs: 32
; NumVgprs: 12
; ScratchSize: 0
; MemoryBound: 0
; FloatMode: 240
; IeeeMode: 1
; LDSByteSize: 0 bytes/workgroup (compile time only)
; SGPRBlocks: 0
; VGPRBlocks: 0
; NumSGPRsForWavesPerEU: 32
; NumVGPRsForWavesPerEU: 12
; NamedBarCnt: 0
; Occupancy: 16
; WaveLimiterHint : 0
; COMPUTE_PGM_RSRC2:SCRATCH_EN: 0
; COMPUTE_PGM_RSRC2:USER_SGPR: 2
; COMPUTE_PGM_RSRC2:TRAP_HANDLER: 0
; COMPUTE_PGM_RSRC2:TGID_X_EN: 1
; COMPUTE_PGM_RSRC2:TGID_Y_EN: 0
; COMPUTE_PGM_RSRC2:TGID_Z_EN: 1
; COMPUTE_PGM_RSRC2:TIDIG_COMP_CNT: 0
	.section	.text._ZL23rocblas_syr_kernel_inc1ILb1ELi1024EdPKdS1_PdEvimT2_lT3_llT4_llli,"axG",@progbits,_ZL23rocblas_syr_kernel_inc1ILb1ELi1024EdPKdS1_PdEvimT2_lT3_llT4_llli,comdat
	.globl	_ZL23rocblas_syr_kernel_inc1ILb1ELi1024EdPKdS1_PdEvimT2_lT3_llT4_llli ; -- Begin function _ZL23rocblas_syr_kernel_inc1ILb1ELi1024EdPKdS1_PdEvimT2_lT3_llT4_llli
	.p2align	8
	.type	_ZL23rocblas_syr_kernel_inc1ILb1ELi1024EdPKdS1_PdEvimT2_lT3_llT4_llli,@function
_ZL23rocblas_syr_kernel_inc1ILb1ELi1024EdPKdS1_PdEvimT2_lT3_llT4_llli: ; @_ZL23rocblas_syr_kernel_inc1ILb1ELi1024EdPKdS1_PdEvimT2_lT3_llT4_llli
; %bb.0:
	s_load_b32 s24, s[0:1], 0x58
	s_bfe_u32 s2, ttmp6, 0x40014
	s_lshr_b32 s3, ttmp7, 16
	s_add_co_i32 s2, s2, 1
	s_bfe_u32 s4, ttmp6, 0x40008
	s_mul_i32 s2, s3, s2
	s_getreg_b32 s25, hwreg(HW_REG_IB_STS2, 6, 4)
	s_add_co_i32 s4, s4, s2
	s_cmp_eq_u32 s25, 0
	s_cselect_b32 s2, s3, s4
	s_mov_b32 s3, 0
	s_wait_kmcnt 0x0
	s_cmp_ge_u32 s2, s24
	s_cbranch_scc1 .LBB8_7
; %bb.1:
	s_clause 0x1
	s_load_b512 s[4:19], s[0:1], 0x8
	s_load_b128 s[20:23], s[0:1], 0x48
	s_bfe_u32 s26, ttmp6, 0x4000c
	s_and_b32 s27, ttmp6, 15
	s_add_co_i32 s26, s26, 1
	v_mov_b32_e32 v1, 0
	s_mul_i32 s26, ttmp9, s26
	s_wait_xcnt 0x0
	s_add_nc_u64 s[0:1], s[0:1], 0x60
	s_add_co_i32 s28, s27, s26
	s_wait_kmcnt 0x0
	s_lshl_b64 s[18:19], s[18:19], 3
	s_lshl_b64 s[26:27], s[12:13], 3
	s_cmp_eq_u32 s25, 0
	s_add_nc_u64 s[12:13], s[16:17], s[18:19]
	s_add_nc_u64 s[10:11], s[10:11], s[26:27]
	s_cselect_b32 s16, ttmp9, s28
	s_branch .LBB8_4
.LBB8_2:                                ;   in Loop: Header=BB8_4 Depth=1
	s_wait_xcnt 0x0
	s_or_b32 exec_lo, exec_lo, s17
.LBB8_3:                                ;   in Loop: Header=BB8_4 Depth=1
	s_add_co_i32 s2, s2, 0x10000
	s_delay_alu instid0(SALU_CYCLE_1)
	s_cmp_lt_u32 s2, s24
	s_cbranch_scc0 .LBB8_7
.LBB8_4:                                ; =>This Inner Loop Header: Depth=1
	s_wait_xcnt 0x0
	s_mul_u64 s[18:19], s[8:9], s[2:3]
	s_delay_alu instid0(SALU_CYCLE_1) | instskip(NEXT) | instid1(SALU_CYCLE_1)
	s_lshl_b64 s[18:19], s[18:19], 3
	s_add_nc_u64 s[18:19], s[6:7], s[18:19]
	global_load_b64 v[2:3], v1, s[18:19]
	s_wait_loadcnt 0x0
	v_cmp_eq_f64_e32 vcc_lo, 0, v[2:3]
	s_cbranch_vccnz .LBB8_3
; %bb.5:                                ;   in Loop: Header=BB8_4 Depth=1
	s_load_b32 s17, s[0:1], 0xc
	s_wait_kmcnt 0x0
	s_and_b32 s17, s17, 0xffff
	s_delay_alu instid0(SALU_CYCLE_1) | instskip(SKIP_1) | instid1(VALU_DEP_1)
	v_mad_nc_u64_u32 v[4:5], s17, s16, v[0:1]
	s_mov_b32 s17, exec_lo
	v_cmpx_gt_u64_e64 s[4:5], v[4:5]
	s_cbranch_execz .LBB8_2
; %bb.6:                                ;   in Loop: Header=BB8_4 Depth=1
	v_lshlrev_b64_e32 v[6:7], 3, v[4:5]
	s_mul_u64 s[18:19], s[14:15], s[2:3]
	s_mul_u64 s[26:27], s[22:23], s[2:3]
	s_lshl_b64 s[18:19], s[18:19], 3
	s_lshl_b64 s[26:27], s[26:27], 3
	s_add_nc_u64 s[18:19], s[10:11], s[18:19]
	s_add_nc_u64 s[26:27], s[12:13], s[26:27]
	v_cvt_f64_u32_e32 v[8:9], v7
	v_or_b32_e32 v5, 1, v6
	s_delay_alu instid0(VALU_DEP_1) | instskip(NEXT) | instid1(VALU_DEP_3)
	v_cvt_f64_u32_e32 v[6:7], v5
	v_ldexp_f64 v[8:9], v[8:9], 32
	s_delay_alu instid0(VALU_DEP_1) | instskip(NEXT) | instid1(VALU_DEP_1)
	v_add_f64_e32 v[6:7], v[8:9], v[6:7]
	v_cmp_gt_f64_e32 vcc_lo, 0x10000000, v[6:7]
	v_cndmask_b32_e64 v5, 0, 0x100, vcc_lo
	s_delay_alu instid0(VALU_DEP_1) | instskip(SKIP_1) | instid1(VALU_DEP_2)
	v_ldexp_f64 v[6:7], v[6:7], v5
	v_cndmask_b32_e64 v5, 0, 0xffffff80, vcc_lo
	v_rsq_f64_e32 v[8:9], v[6:7]
	v_cmp_class_f64_e64 vcc_lo, v[6:7], 0x260
	s_delay_alu instid0(TRANS32_DEP_1) | instskip(SKIP_1) | instid1(VALU_DEP_1)
	v_mul_f64_e32 v[10:11], v[6:7], v[8:9]
	v_mul_f64_e32 v[8:9], 0.5, v[8:9]
	v_fma_f64 v[12:13], -v[8:9], v[10:11], 0.5
	s_delay_alu instid0(VALU_DEP_1) | instskip(SKIP_1) | instid1(VALU_DEP_2)
	v_fmac_f64_e32 v[10:11], v[10:11], v[12:13]
	v_fmac_f64_e32 v[8:9], v[8:9], v[12:13]
	v_fma_f64 v[12:13], -v[10:11], v[10:11], v[6:7]
	s_delay_alu instid0(VALU_DEP_1) | instskip(NEXT) | instid1(VALU_DEP_1)
	v_fmac_f64_e32 v[10:11], v[12:13], v[8:9]
	v_fma_f64 v[12:13], -v[10:11], v[10:11], v[6:7]
	s_delay_alu instid0(VALU_DEP_1) | instskip(NEXT) | instid1(VALU_DEP_1)
	v_fmac_f64_e32 v[10:11], v[12:13], v[8:9]
	v_ldexp_f64 v[8:9], v[10:11], v5
	s_delay_alu instid0(VALU_DEP_1) | instskip(NEXT) | instid1(VALU_DEP_1)
	v_dual_cndmask_b32 v7, v9, v7 :: v_dual_cndmask_b32 v6, v8, v6
	v_add_f64_e32 v[6:7], -1.0, v[6:7]
	s_delay_alu instid0(VALU_DEP_1) | instskip(NEXT) | instid1(VALU_DEP_1)
	v_mul_f64_e32 v[6:7], 0.5, v[6:7]
	v_cvt_i32_f64_e32 v6, v[6:7]
	s_delay_alu instid0(VALU_DEP_1) | instskip(NEXT) | instid1(VALU_DEP_1)
	v_mad_u32 v5, v6, v6, v6
	v_lshrrev_b32_e32 v7, 31, v5
	s_delay_alu instid0(VALU_DEP_1) | instskip(NEXT) | instid1(VALU_DEP_1)
	v_dual_add_nc_u32 v5, v5, v7 :: v_dual_ashrrev_i32 v7, 31, v6
	v_ashrrev_i32_e32 v5, 1, v5
	s_delay_alu instid0(VALU_DEP_2) | instskip(NEXT) | instid1(VALU_DEP_2)
	v_mul_u64_e32 v[8:9], s[20:21], v[6:7]
	v_sub_nc_u32_e32 v4, v4, v5
	global_load_b64 v[10:11], v4, s[18:19] scale_offset
	v_ashrrev_i32_e32 v5, 31, v4
	v_lshl_add_u64 v[8:9], v[8:9], 3, s[26:27]
	s_wait_xcnt 0x0
	s_delay_alu instid0(VALU_DEP_1)
	v_lshl_add_u64 v[4:5], v[4:5], 3, v[8:9]
	global_load_b64 v[8:9], v6, s[18:19] scale_offset
	global_load_b64 v[12:13], v[4:5], off
	s_wait_loadcnt 0x2
	v_mul_f64_e32 v[2:3], v[2:3], v[10:11]
	s_wait_loadcnt 0x0
	s_delay_alu instid0(VALU_DEP_1)
	v_fmac_f64_e32 v[12:13], v[2:3], v[8:9]
	global_store_b64 v[4:5], v[12:13], off
	s_branch .LBB8_2
.LBB8_7:
	s_endpgm
	.section	.rodata,"a",@progbits
	.p2align	6, 0x0
	.amdhsa_kernel _ZL23rocblas_syr_kernel_inc1ILb1ELi1024EdPKdS1_PdEvimT2_lT3_llT4_llli
		.amdhsa_group_segment_fixed_size 0
		.amdhsa_private_segment_fixed_size 0
		.amdhsa_kernarg_size 352
		.amdhsa_user_sgpr_count 2
		.amdhsa_user_sgpr_dispatch_ptr 0
		.amdhsa_user_sgpr_queue_ptr 0
		.amdhsa_user_sgpr_kernarg_segment_ptr 1
		.amdhsa_user_sgpr_dispatch_id 0
		.amdhsa_user_sgpr_kernarg_preload_length 0
		.amdhsa_user_sgpr_kernarg_preload_offset 0
		.amdhsa_user_sgpr_private_segment_size 0
		.amdhsa_wavefront_size32 1
		.amdhsa_uses_dynamic_stack 0
		.amdhsa_enable_private_segment 0
		.amdhsa_system_sgpr_workgroup_id_x 1
		.amdhsa_system_sgpr_workgroup_id_y 0
		.amdhsa_system_sgpr_workgroup_id_z 1
		.amdhsa_system_sgpr_workgroup_info 0
		.amdhsa_system_vgpr_workitem_id 0
		.amdhsa_next_free_vgpr 14
		.amdhsa_next_free_sgpr 29
		.amdhsa_named_barrier_count 0
		.amdhsa_reserve_vcc 1
		.amdhsa_float_round_mode_32 0
		.amdhsa_float_round_mode_16_64 0
		.amdhsa_float_denorm_mode_32 3
		.amdhsa_float_denorm_mode_16_64 3
		.amdhsa_fp16_overflow 0
		.amdhsa_memory_ordered 1
		.amdhsa_forward_progress 1
		.amdhsa_inst_pref_size 6
		.amdhsa_round_robin_scheduling 0
		.amdhsa_exception_fp_ieee_invalid_op 0
		.amdhsa_exception_fp_denorm_src 0
		.amdhsa_exception_fp_ieee_div_zero 0
		.amdhsa_exception_fp_ieee_overflow 0
		.amdhsa_exception_fp_ieee_underflow 0
		.amdhsa_exception_fp_ieee_inexact 0
		.amdhsa_exception_int_div_zero 0
	.end_amdhsa_kernel
	.section	.text._ZL23rocblas_syr_kernel_inc1ILb1ELi1024EdPKdS1_PdEvimT2_lT3_llT4_llli,"axG",@progbits,_ZL23rocblas_syr_kernel_inc1ILb1ELi1024EdPKdS1_PdEvimT2_lT3_llT4_llli,comdat
.Lfunc_end8:
	.size	_ZL23rocblas_syr_kernel_inc1ILb1ELi1024EdPKdS1_PdEvimT2_lT3_llT4_llli, .Lfunc_end8-_ZL23rocblas_syr_kernel_inc1ILb1ELi1024EdPKdS1_PdEvimT2_lT3_llT4_llli
                                        ; -- End function
	.set _ZL23rocblas_syr_kernel_inc1ILb1ELi1024EdPKdS1_PdEvimT2_lT3_llT4_llli.num_vgpr, 14
	.set _ZL23rocblas_syr_kernel_inc1ILb1ELi1024EdPKdS1_PdEvimT2_lT3_llT4_llli.num_agpr, 0
	.set _ZL23rocblas_syr_kernel_inc1ILb1ELi1024EdPKdS1_PdEvimT2_lT3_llT4_llli.numbered_sgpr, 29
	.set _ZL23rocblas_syr_kernel_inc1ILb1ELi1024EdPKdS1_PdEvimT2_lT3_llT4_llli.num_named_barrier, 0
	.set _ZL23rocblas_syr_kernel_inc1ILb1ELi1024EdPKdS1_PdEvimT2_lT3_llT4_llli.private_seg_size, 0
	.set _ZL23rocblas_syr_kernel_inc1ILb1ELi1024EdPKdS1_PdEvimT2_lT3_llT4_llli.uses_vcc, 1
	.set _ZL23rocblas_syr_kernel_inc1ILb1ELi1024EdPKdS1_PdEvimT2_lT3_llT4_llli.uses_flat_scratch, 0
	.set _ZL23rocblas_syr_kernel_inc1ILb1ELi1024EdPKdS1_PdEvimT2_lT3_llT4_llli.has_dyn_sized_stack, 0
	.set _ZL23rocblas_syr_kernel_inc1ILb1ELi1024EdPKdS1_PdEvimT2_lT3_llT4_llli.has_recursion, 0
	.set _ZL23rocblas_syr_kernel_inc1ILb1ELi1024EdPKdS1_PdEvimT2_lT3_llT4_llli.has_indirect_call, 0
	.section	.AMDGPU.csdata,"",@progbits
; Kernel info:
; codeLenInByte = 652
; TotalNumSgprs: 31
; NumVgprs: 14
; ScratchSize: 0
; MemoryBound: 0
; FloatMode: 240
; IeeeMode: 1
; LDSByteSize: 0 bytes/workgroup (compile time only)
; SGPRBlocks: 0
; VGPRBlocks: 0
; NumSGPRsForWavesPerEU: 31
; NumVGPRsForWavesPerEU: 14
; NamedBarCnt: 0
; Occupancy: 16
; WaveLimiterHint : 0
; COMPUTE_PGM_RSRC2:SCRATCH_EN: 0
; COMPUTE_PGM_RSRC2:USER_SGPR: 2
; COMPUTE_PGM_RSRC2:TRAP_HANDLER: 0
; COMPUTE_PGM_RSRC2:TGID_X_EN: 1
; COMPUTE_PGM_RSRC2:TGID_Y_EN: 0
; COMPUTE_PGM_RSRC2:TGID_Z_EN: 1
; COMPUTE_PGM_RSRC2:TIDIG_COMP_CNT: 0
	.section	.text._ZL18rocblas_syr_kernelILb1ELi1024EdPKdS1_PdEvimT2_lT3_lllT4_llli,"axG",@progbits,_ZL18rocblas_syr_kernelILb1ELi1024EdPKdS1_PdEvimT2_lT3_lllT4_llli,comdat
	.globl	_ZL18rocblas_syr_kernelILb1ELi1024EdPKdS1_PdEvimT2_lT3_lllT4_llli ; -- Begin function _ZL18rocblas_syr_kernelILb1ELi1024EdPKdS1_PdEvimT2_lT3_lllT4_llli
	.p2align	8
	.type	_ZL18rocblas_syr_kernelILb1ELi1024EdPKdS1_PdEvimT2_lT3_lllT4_llli,@function
_ZL18rocblas_syr_kernelILb1ELi1024EdPKdS1_PdEvimT2_lT3_lllT4_llli: ; @_ZL18rocblas_syr_kernelILb1ELi1024EdPKdS1_PdEvimT2_lT3_lllT4_llli
; %bb.0:
	s_load_b32 s26, s[0:1], 0x60
	s_bfe_u32 s2, ttmp6, 0x40014
	s_lshr_b32 s3, ttmp7, 16
	s_add_co_i32 s2, s2, 1
	s_bfe_u32 s4, ttmp6, 0x40008
	s_mul_i32 s2, s3, s2
	s_getreg_b32 s27, hwreg(HW_REG_IB_STS2, 6, 4)
	s_add_co_i32 s4, s4, s2
	s_cmp_eq_u32 s27, 0
	s_cselect_b32 s2, s3, s4
	s_mov_b32 s3, 0
	s_wait_kmcnt 0x0
	s_cmp_ge_u32 s2, s26
	s_cbranch_scc1 .LBB9_7
; %bb.1:
	s_clause 0x2
	s_load_b128 s[20:23], s[0:1], 0x48
	s_load_b512 s[4:19], s[0:1], 0x8
	s_load_b64 s[24:25], s[0:1], 0x58
	s_bfe_u32 s28, ttmp6, 0x4000c
	s_and_b32 s29, ttmp6, 15
	s_add_co_i32 s28, s28, 1
	v_mov_b32_e32 v1, 0
	s_mul_i32 s28, ttmp9, s28
	s_wait_xcnt 0x0
	s_add_nc_u64 s[0:1], s[0:1], 0x68
	s_add_co_i32 s30, s29, s28
	s_wait_kmcnt 0x0
	s_lshl_b64 s[20:21], s[20:21], 3
	s_lshl_b64 s[28:29], s[12:13], 3
	s_cmp_eq_u32 s27, 0
	s_add_nc_u64 s[12:13], s[18:19], s[20:21]
	s_add_nc_u64 s[10:11], s[10:11], s[28:29]
	s_cselect_b32 s18, ttmp9, s30
	s_branch .LBB9_4
.LBB9_2:                                ;   in Loop: Header=BB9_4 Depth=1
	s_wait_xcnt 0x0
	s_or_b32 exec_lo, exec_lo, s19
.LBB9_3:                                ;   in Loop: Header=BB9_4 Depth=1
	s_add_co_i32 s2, s2, 0x10000
	s_delay_alu instid0(SALU_CYCLE_1)
	s_cmp_lt_u32 s2, s26
	s_cbranch_scc0 .LBB9_7
.LBB9_4:                                ; =>This Inner Loop Header: Depth=1
	s_wait_xcnt 0x0
	s_mul_u64 s[20:21], s[8:9], s[2:3]
	s_delay_alu instid0(SALU_CYCLE_1) | instskip(NEXT) | instid1(SALU_CYCLE_1)
	s_lshl_b64 s[20:21], s[20:21], 3
	s_add_nc_u64 s[20:21], s[6:7], s[20:21]
	global_load_b64 v[2:3], v1, s[20:21]
	s_wait_loadcnt 0x0
	v_cmp_eq_f64_e32 vcc_lo, 0, v[2:3]
	s_cbranch_vccnz .LBB9_3
; %bb.5:                                ;   in Loop: Header=BB9_4 Depth=1
	s_load_b32 s19, s[0:1], 0xc
	s_wait_kmcnt 0x0
	s_and_b32 s19, s19, 0xffff
	s_delay_alu instid0(SALU_CYCLE_1) | instskip(SKIP_1) | instid1(VALU_DEP_1)
	v_mad_nc_u64_u32 v[4:5], s19, s18, v[0:1]
	s_mov_b32 s19, exec_lo
	v_cmpx_gt_u64_e64 s[4:5], v[4:5]
	s_cbranch_execz .LBB9_2
; %bb.6:                                ;   in Loop: Header=BB9_4 Depth=1
	v_lshlrev_b64_e32 v[6:7], 3, v[4:5]
	s_mul_u64 s[20:21], s[16:17], s[2:3]
	s_mul_u64 s[28:29], s[24:25], s[2:3]
	s_lshl_b64 s[20:21], s[20:21], 3
	s_lshl_b64 s[28:29], s[28:29], 3
	s_add_nc_u64 s[20:21], s[10:11], s[20:21]
	s_add_nc_u64 s[28:29], s[12:13], s[28:29]
	v_cvt_f64_u32_e32 v[8:9], v7
	v_or_b32_e32 v5, 1, v6
	s_delay_alu instid0(VALU_DEP_1) | instskip(NEXT) | instid1(VALU_DEP_3)
	v_cvt_f64_u32_e32 v[6:7], v5
	v_ldexp_f64 v[8:9], v[8:9], 32
	s_delay_alu instid0(VALU_DEP_1) | instskip(NEXT) | instid1(VALU_DEP_1)
	v_add_f64_e32 v[6:7], v[8:9], v[6:7]
	v_cmp_gt_f64_e32 vcc_lo, 0x10000000, v[6:7]
	v_cndmask_b32_e64 v5, 0, 0x100, vcc_lo
	s_delay_alu instid0(VALU_DEP_1) | instskip(SKIP_1) | instid1(VALU_DEP_2)
	v_ldexp_f64 v[6:7], v[6:7], v5
	v_cndmask_b32_e64 v5, 0, 0xffffff80, vcc_lo
	v_rsq_f64_e32 v[8:9], v[6:7]
	v_cmp_class_f64_e64 vcc_lo, v[6:7], 0x260
	s_delay_alu instid0(TRANS32_DEP_1) | instskip(SKIP_1) | instid1(VALU_DEP_1)
	v_mul_f64_e32 v[10:11], v[6:7], v[8:9]
	v_mul_f64_e32 v[8:9], 0.5, v[8:9]
	v_fma_f64 v[12:13], -v[8:9], v[10:11], 0.5
	s_delay_alu instid0(VALU_DEP_1) | instskip(SKIP_1) | instid1(VALU_DEP_2)
	v_fmac_f64_e32 v[10:11], v[10:11], v[12:13]
	v_fmac_f64_e32 v[8:9], v[8:9], v[12:13]
	v_fma_f64 v[12:13], -v[10:11], v[10:11], v[6:7]
	s_delay_alu instid0(VALU_DEP_1) | instskip(NEXT) | instid1(VALU_DEP_1)
	v_fmac_f64_e32 v[10:11], v[12:13], v[8:9]
	v_fma_f64 v[12:13], -v[10:11], v[10:11], v[6:7]
	s_delay_alu instid0(VALU_DEP_1) | instskip(NEXT) | instid1(VALU_DEP_1)
	v_fmac_f64_e32 v[10:11], v[12:13], v[8:9]
	v_ldexp_f64 v[8:9], v[10:11], v5
	s_delay_alu instid0(VALU_DEP_1) | instskip(NEXT) | instid1(VALU_DEP_1)
	v_dual_cndmask_b32 v7, v9, v7 :: v_dual_cndmask_b32 v6, v8, v6
	v_add_f64_e32 v[6:7], -1.0, v[6:7]
	s_delay_alu instid0(VALU_DEP_1) | instskip(NEXT) | instid1(VALU_DEP_1)
	v_mul_f64_e32 v[6:7], 0.5, v[6:7]
	v_cvt_i32_f64_e32 v6, v[6:7]
	s_delay_alu instid0(VALU_DEP_1) | instskip(NEXT) | instid1(VALU_DEP_1)
	v_mad_u32 v5, v6, v6, v6
	v_lshrrev_b32_e32 v7, 31, v5
	s_delay_alu instid0(VALU_DEP_1) | instskip(NEXT) | instid1(VALU_DEP_1)
	v_add_nc_u32_e32 v5, v5, v7
	v_ashrrev_i32_e32 v5, 1, v5
	s_delay_alu instid0(VALU_DEP_1) | instskip(NEXT) | instid1(VALU_DEP_1)
	v_sub_nc_u32_e32 v4, v4, v5
	v_ashrrev_i32_e32 v5, 31, v4
	s_delay_alu instid0(VALU_DEP_1) | instskip(NEXT) | instid1(VALU_DEP_1)
	v_mul_u64_e32 v[8:9], s[14:15], v[4:5]
	v_lshl_add_u64 v[8:9], v[8:9], 3, s[20:21]
	global_load_b64 v[8:9], v[8:9], off
	s_wait_loadcnt 0x0
	v_dual_mul_f64 v[2:3], v[2:3], v[8:9] :: v_dual_ashrrev_i32 v7, 31, v6
	s_delay_alu instid0(VALU_DEP_1) | instskip(SKIP_1) | instid1(VALU_DEP_2)
	v_mul_u64_e32 v[10:11], s[22:23], v[6:7]
	v_mul_u64_e32 v[6:7], s[14:15], v[6:7]
	v_lshl_add_u64 v[10:11], v[10:11], 3, s[28:29]
	s_delay_alu instid0(VALU_DEP_2) | instskip(NEXT) | instid1(VALU_DEP_2)
	v_lshl_add_u64 v[6:7], v[6:7], 3, s[20:21]
	v_lshl_add_u64 v[4:5], v[4:5], 3, v[10:11]
	global_load_b64 v[10:11], v[6:7], off
	global_load_b64 v[12:13], v[4:5], off
	s_wait_loadcnt 0x0
	v_fmac_f64_e32 v[12:13], v[2:3], v[10:11]
	global_store_b64 v[4:5], v[12:13], off
	s_branch .LBB9_2
.LBB9_7:
	s_endpgm
	.section	.rodata,"a",@progbits
	.p2align	6, 0x0
	.amdhsa_kernel _ZL18rocblas_syr_kernelILb1ELi1024EdPKdS1_PdEvimT2_lT3_lllT4_llli
		.amdhsa_group_segment_fixed_size 0
		.amdhsa_private_segment_fixed_size 0
		.amdhsa_kernarg_size 360
		.amdhsa_user_sgpr_count 2
		.amdhsa_user_sgpr_dispatch_ptr 0
		.amdhsa_user_sgpr_queue_ptr 0
		.amdhsa_user_sgpr_kernarg_segment_ptr 1
		.amdhsa_user_sgpr_dispatch_id 0
		.amdhsa_user_sgpr_kernarg_preload_length 0
		.amdhsa_user_sgpr_kernarg_preload_offset 0
		.amdhsa_user_sgpr_private_segment_size 0
		.amdhsa_wavefront_size32 1
		.amdhsa_uses_dynamic_stack 0
		.amdhsa_enable_private_segment 0
		.amdhsa_system_sgpr_workgroup_id_x 1
		.amdhsa_system_sgpr_workgroup_id_y 0
		.amdhsa_system_sgpr_workgroup_id_z 1
		.amdhsa_system_sgpr_workgroup_info 0
		.amdhsa_system_vgpr_workitem_id 0
		.amdhsa_next_free_vgpr 14
		.amdhsa_next_free_sgpr 31
		.amdhsa_named_barrier_count 0
		.amdhsa_reserve_vcc 1
		.amdhsa_float_round_mode_32 0
		.amdhsa_float_round_mode_16_64 0
		.amdhsa_float_denorm_mode_32 3
		.amdhsa_float_denorm_mode_16_64 3
		.amdhsa_fp16_overflow 0
		.amdhsa_memory_ordered 1
		.amdhsa_forward_progress 1
		.amdhsa_inst_pref_size 6
		.amdhsa_round_robin_scheduling 0
		.amdhsa_exception_fp_ieee_invalid_op 0
		.amdhsa_exception_fp_denorm_src 0
		.amdhsa_exception_fp_ieee_div_zero 0
		.amdhsa_exception_fp_ieee_overflow 0
		.amdhsa_exception_fp_ieee_underflow 0
		.amdhsa_exception_fp_ieee_inexact 0
		.amdhsa_exception_int_div_zero 0
	.end_amdhsa_kernel
	.section	.text._ZL18rocblas_syr_kernelILb1ELi1024EdPKdS1_PdEvimT2_lT3_lllT4_llli,"axG",@progbits,_ZL18rocblas_syr_kernelILb1ELi1024EdPKdS1_PdEvimT2_lT3_lllT4_llli,comdat
.Lfunc_end9:
	.size	_ZL18rocblas_syr_kernelILb1ELi1024EdPKdS1_PdEvimT2_lT3_lllT4_llli, .Lfunc_end9-_ZL18rocblas_syr_kernelILb1ELi1024EdPKdS1_PdEvimT2_lT3_lllT4_llli
                                        ; -- End function
	.set _ZL18rocblas_syr_kernelILb1ELi1024EdPKdS1_PdEvimT2_lT3_lllT4_llli.num_vgpr, 14
	.set _ZL18rocblas_syr_kernelILb1ELi1024EdPKdS1_PdEvimT2_lT3_lllT4_llli.num_agpr, 0
	.set _ZL18rocblas_syr_kernelILb1ELi1024EdPKdS1_PdEvimT2_lT3_lllT4_llli.numbered_sgpr, 31
	.set _ZL18rocblas_syr_kernelILb1ELi1024EdPKdS1_PdEvimT2_lT3_lllT4_llli.num_named_barrier, 0
	.set _ZL18rocblas_syr_kernelILb1ELi1024EdPKdS1_PdEvimT2_lT3_lllT4_llli.private_seg_size, 0
	.set _ZL18rocblas_syr_kernelILb1ELi1024EdPKdS1_PdEvimT2_lT3_lllT4_llli.uses_vcc, 1
	.set _ZL18rocblas_syr_kernelILb1ELi1024EdPKdS1_PdEvimT2_lT3_lllT4_llli.uses_flat_scratch, 0
	.set _ZL18rocblas_syr_kernelILb1ELi1024EdPKdS1_PdEvimT2_lT3_lllT4_llli.has_dyn_sized_stack, 0
	.set _ZL18rocblas_syr_kernelILb1ELi1024EdPKdS1_PdEvimT2_lT3_lllT4_llli.has_recursion, 0
	.set _ZL18rocblas_syr_kernelILb1ELi1024EdPKdS1_PdEvimT2_lT3_lllT4_llli.has_indirect_call, 0
	.section	.AMDGPU.csdata,"",@progbits
; Kernel info:
; codeLenInByte = 684
; TotalNumSgprs: 33
; NumVgprs: 14
; ScratchSize: 0
; MemoryBound: 0
; FloatMode: 240
; IeeeMode: 1
; LDSByteSize: 0 bytes/workgroup (compile time only)
; SGPRBlocks: 0
; VGPRBlocks: 0
; NumSGPRsForWavesPerEU: 33
; NumVGPRsForWavesPerEU: 14
; NamedBarCnt: 0
; Occupancy: 16
; WaveLimiterHint : 0
; COMPUTE_PGM_RSRC2:SCRATCH_EN: 0
; COMPUTE_PGM_RSRC2:USER_SGPR: 2
; COMPUTE_PGM_RSRC2:TRAP_HANDLER: 0
; COMPUTE_PGM_RSRC2:TGID_X_EN: 1
; COMPUTE_PGM_RSRC2:TGID_Y_EN: 0
; COMPUTE_PGM_RSRC2:TGID_Z_EN: 1
; COMPUTE_PGM_RSRC2:TIDIG_COMP_CNT: 0
	.section	.text._ZL23rocblas_syr_kernel_inc1ILb0ELi1024EdPKdS1_PdEvimT2_lT3_llT4_llli,"axG",@progbits,_ZL23rocblas_syr_kernel_inc1ILb0ELi1024EdPKdS1_PdEvimT2_lT3_llT4_llli,comdat
	.globl	_ZL23rocblas_syr_kernel_inc1ILb0ELi1024EdPKdS1_PdEvimT2_lT3_llT4_llli ; -- Begin function _ZL23rocblas_syr_kernel_inc1ILb0ELi1024EdPKdS1_PdEvimT2_lT3_llT4_llli
	.p2align	8
	.type	_ZL23rocblas_syr_kernel_inc1ILb0ELi1024EdPKdS1_PdEvimT2_lT3_llT4_llli,@function
_ZL23rocblas_syr_kernel_inc1ILb0ELi1024EdPKdS1_PdEvimT2_lT3_llT4_llli: ; @_ZL23rocblas_syr_kernel_inc1ILb0ELi1024EdPKdS1_PdEvimT2_lT3_llT4_llli
; %bb.0:
	s_load_b32 s26, s[0:1], 0x58
	s_bfe_u32 s2, ttmp6, 0x40014
	s_lshr_b32 s3, ttmp7, 16
	s_add_co_i32 s2, s2, 1
	s_bfe_u32 s4, ttmp6, 0x40008
	s_mul_i32 s2, s3, s2
	s_getreg_b32 s27, hwreg(HW_REG_IB_STS2, 6, 4)
	s_add_co_i32 s4, s4, s2
	s_cmp_eq_u32 s27, 0
	s_cselect_b32 s2, s3, s4
	s_mov_b32 s3, 0
	s_wait_kmcnt 0x0
	s_cmp_ge_u32 s2, s26
	s_cbranch_scc1 .LBB10_7
; %bb.1:
	s_clause 0x2
	s_load_b32 s24, s[0:1], 0x0
	s_load_b512 s[4:19], s[0:1], 0x8
	s_load_b128 s[20:23], s[0:1], 0x48
	s_bfe_u32 s25, ttmp6, 0x4000c
	s_and_b32 s28, ttmp6, 15
	s_add_co_i32 s25, s25, 1
	v_mov_b32_e32 v1, 0
	s_mul_i32 s25, ttmp9, s25
	s_wait_xcnt 0x0
	s_add_nc_u64 s[0:1], s[0:1], 0x60
	s_add_co_i32 s30, s28, s25
	s_wait_kmcnt 0x0
	s_ashr_i32 s25, s24, 31
	s_lshl_b64 s[18:19], s[18:19], 3
	s_lshl_b64 s[28:29], s[12:13], 3
	s_cmp_eq_u32 s27, 0
	s_add_nc_u64 s[12:13], s[16:17], s[18:19]
	s_add_nc_u64 s[10:11], s[10:11], s[28:29]
	s_cselect_b32 s16, ttmp9, s30
	s_add_co_i32 s17, s24, -1
	s_branch .LBB10_4
.LBB10_2:                               ;   in Loop: Header=BB10_4 Depth=1
	s_wait_xcnt 0x0
	s_or_b32 exec_lo, exec_lo, s18
.LBB10_3:                               ;   in Loop: Header=BB10_4 Depth=1
	s_add_co_i32 s2, s2, 0x10000
	s_delay_alu instid0(SALU_CYCLE_1)
	s_cmp_lt_u32 s2, s26
	s_cbranch_scc0 .LBB10_7
.LBB10_4:                               ; =>This Inner Loop Header: Depth=1
	s_wait_xcnt 0x0
	s_mul_u64 s[18:19], s[8:9], s[2:3]
	s_delay_alu instid0(SALU_CYCLE_1) | instskip(NEXT) | instid1(SALU_CYCLE_1)
	s_lshl_b64 s[18:19], s[18:19], 3
	s_add_nc_u64 s[18:19], s[6:7], s[18:19]
	global_load_b64 v[2:3], v1, s[18:19]
	s_wait_loadcnt 0x0
	v_cmp_eq_f64_e32 vcc_lo, 0, v[2:3]
	s_cbranch_vccnz .LBB10_3
; %bb.5:                                ;   in Loop: Header=BB10_4 Depth=1
	s_wait_xcnt 0x0
	s_load_b32 s18, s[0:1], 0xc
	s_wait_kmcnt 0x0
	s_and_b32 s18, s18, 0xffff
	s_delay_alu instid0(SALU_CYCLE_1) | instskip(SKIP_1) | instid1(VALU_DEP_1)
	v_mad_nc_u64_u32 v[4:5], s18, s16, v[0:1]
	s_mov_b32 s18, exec_lo
	v_cmpx_gt_u64_e64 s[4:5], v[4:5]
	s_cbranch_execz .LBB10_2
; %bb.6:                                ;   in Loop: Header=BB10_4 Depth=1
	v_not_b32_e32 v5, v5
	v_not_b32_e32 v4, v4
	s_mul_u64 s[28:29], s[14:15], s[2:3]
	s_mul_u64 s[30:31], s[22:23], s[2:3]
	s_lshl_b64 s[28:29], s[28:29], 3
	s_lshl_b64 s[30:31], s[30:31], 3
	v_add_nc_u64_e32 v[4:5], s[4:5], v[4:5]
	s_add_nc_u64 s[28:29], s[10:11], s[28:29]
	s_add_nc_u64 s[30:31], s[12:13], s[30:31]
	s_delay_alu instid0(VALU_DEP_1) | instskip(NEXT) | instid1(VALU_DEP_1)
	v_lshlrev_b64_e32 v[6:7], 3, v[4:5]
	v_cvt_f64_u32_e32 v[8:9], v7
	s_delay_alu instid0(VALU_DEP_2) | instskip(NEXT) | instid1(VALU_DEP_1)
	v_or_b32_e32 v5, 1, v6
	v_cvt_f64_u32_e32 v[6:7], v5
	s_delay_alu instid0(VALU_DEP_3) | instskip(NEXT) | instid1(VALU_DEP_1)
	v_ldexp_f64 v[8:9], v[8:9], 32
	v_add_f64_e32 v[6:7], v[8:9], v[6:7]
	s_delay_alu instid0(VALU_DEP_1) | instskip(SKIP_1) | instid1(VALU_DEP_1)
	v_cmp_gt_f64_e32 vcc_lo, 0x10000000, v[6:7]
	v_cndmask_b32_e64 v5, 0, 0x100, vcc_lo
	v_ldexp_f64 v[6:7], v[6:7], v5
	v_cndmask_b32_e64 v5, 0, 0xffffff80, vcc_lo
	s_delay_alu instid0(VALU_DEP_2) | instskip(SKIP_1) | instid1(TRANS32_DEP_1)
	v_rsq_f64_e32 v[8:9], v[6:7]
	v_cmp_class_f64_e64 vcc_lo, v[6:7], 0x260
	v_mul_f64_e32 v[10:11], v[6:7], v[8:9]
	v_mul_f64_e32 v[8:9], 0.5, v[8:9]
	s_delay_alu instid0(VALU_DEP_1) | instskip(NEXT) | instid1(VALU_DEP_1)
	v_fma_f64 v[12:13], -v[8:9], v[10:11], 0.5
	v_fmac_f64_e32 v[10:11], v[10:11], v[12:13]
	v_fmac_f64_e32 v[8:9], v[8:9], v[12:13]
	s_delay_alu instid0(VALU_DEP_2) | instskip(NEXT) | instid1(VALU_DEP_1)
	v_fma_f64 v[12:13], -v[10:11], v[10:11], v[6:7]
	v_fmac_f64_e32 v[10:11], v[12:13], v[8:9]
	s_delay_alu instid0(VALU_DEP_1) | instskip(NEXT) | instid1(VALU_DEP_1)
	v_fma_f64 v[12:13], -v[10:11], v[10:11], v[6:7]
	v_fmac_f64_e32 v[10:11], v[12:13], v[8:9]
	s_delay_alu instid0(VALU_DEP_1) | instskip(NEXT) | instid1(VALU_DEP_1)
	v_ldexp_f64 v[8:9], v[10:11], v5
	v_dual_cndmask_b32 v7, v9, v7 :: v_dual_cndmask_b32 v6, v8, v6
	s_delay_alu instid0(VALU_DEP_1) | instskip(NEXT) | instid1(VALU_DEP_1)
	v_add_f64_e32 v[6:7], -1.0, v[6:7]
	v_mul_f64_e32 v[6:7], 0.5, v[6:7]
	s_delay_alu instid0(VALU_DEP_1) | instskip(NEXT) | instid1(VALU_DEP_1)
	v_cvt_i32_f64_e32 v6, v[6:7]
	v_mad_u32 v5, v6, v6, v6
	v_sub_nc_u32_e32 v8, s17, v6
	s_delay_alu instid0(VALU_DEP_1) | instskip(NEXT) | instid1(VALU_DEP_1)
	v_dual_ashrrev_i32 v9, 31, v8 :: v_dual_lshrrev_b32 v7, 31, v5
	v_dual_add_nc_u32 v5, v5, v7 :: v_dual_sub_nc_u32 v7, s17, v4
	s_delay_alu instid0(VALU_DEP_1) | instskip(NEXT) | instid1(VALU_DEP_3)
	v_ashrrev_i32_e32 v10, 1, v5
	v_mul_u64_e32 v[4:5], s[20:21], v[8:9]
	s_delay_alu instid0(VALU_DEP_2) | instskip(SKIP_4) | instid1(VALU_DEP_2)
	v_add_nc_u32_e32 v8, v7, v10
	v_ashrrev_i32_e32 v7, 31, v6
	global_load_b64 v[10:11], v8, s[28:29] scale_offset
	v_sub_nc_u64_e32 v[6:7], s[24:25], v[6:7]
	v_ashrrev_i32_e32 v9, 31, v8
	v_lshl_add_u64 v[6:7], v[6:7], 3, s[28:29]
	v_lshl_add_u64 v[4:5], v[4:5], 3, s[30:31]
	s_delay_alu instid0(VALU_DEP_1)
	v_lshl_add_u64 v[4:5], v[8:9], 3, v[4:5]
	global_load_b64 v[8:9], v[6:7], off offset:-8
	global_load_b64 v[12:13], v[4:5], off
	s_wait_loadcnt 0x2
	v_mul_f64_e32 v[2:3], v[2:3], v[10:11]
	s_wait_loadcnt 0x0
	s_delay_alu instid0(VALU_DEP_1)
	v_fmac_f64_e32 v[12:13], v[2:3], v[8:9]
	global_store_b64 v[4:5], v[12:13], off
	s_branch .LBB10_2
.LBB10_7:
	s_endpgm
	.section	.rodata,"a",@progbits
	.p2align	6, 0x0
	.amdhsa_kernel _ZL23rocblas_syr_kernel_inc1ILb0ELi1024EdPKdS1_PdEvimT2_lT3_llT4_llli
		.amdhsa_group_segment_fixed_size 0
		.amdhsa_private_segment_fixed_size 0
		.amdhsa_kernarg_size 352
		.amdhsa_user_sgpr_count 2
		.amdhsa_user_sgpr_dispatch_ptr 0
		.amdhsa_user_sgpr_queue_ptr 0
		.amdhsa_user_sgpr_kernarg_segment_ptr 1
		.amdhsa_user_sgpr_dispatch_id 0
		.amdhsa_user_sgpr_kernarg_preload_length 0
		.amdhsa_user_sgpr_kernarg_preload_offset 0
		.amdhsa_user_sgpr_private_segment_size 0
		.amdhsa_wavefront_size32 1
		.amdhsa_uses_dynamic_stack 0
		.amdhsa_enable_private_segment 0
		.amdhsa_system_sgpr_workgroup_id_x 1
		.amdhsa_system_sgpr_workgroup_id_y 0
		.amdhsa_system_sgpr_workgroup_id_z 1
		.amdhsa_system_sgpr_workgroup_info 0
		.amdhsa_system_vgpr_workitem_id 0
		.amdhsa_next_free_vgpr 14
		.amdhsa_next_free_sgpr 32
		.amdhsa_named_barrier_count 0
		.amdhsa_reserve_vcc 1
		.amdhsa_float_round_mode_32 0
		.amdhsa_float_round_mode_16_64 0
		.amdhsa_float_denorm_mode_32 3
		.amdhsa_float_denorm_mode_16_64 3
		.amdhsa_fp16_overflow 0
		.amdhsa_memory_ordered 1
		.amdhsa_forward_progress 1
		.amdhsa_inst_pref_size 6
		.amdhsa_round_robin_scheduling 0
		.amdhsa_exception_fp_ieee_invalid_op 0
		.amdhsa_exception_fp_denorm_src 0
		.amdhsa_exception_fp_ieee_div_zero 0
		.amdhsa_exception_fp_ieee_overflow 0
		.amdhsa_exception_fp_ieee_underflow 0
		.amdhsa_exception_fp_ieee_inexact 0
		.amdhsa_exception_int_div_zero 0
	.end_amdhsa_kernel
	.section	.text._ZL23rocblas_syr_kernel_inc1ILb0ELi1024EdPKdS1_PdEvimT2_lT3_llT4_llli,"axG",@progbits,_ZL23rocblas_syr_kernel_inc1ILb0ELi1024EdPKdS1_PdEvimT2_lT3_llT4_llli,comdat
.Lfunc_end10:
	.size	_ZL23rocblas_syr_kernel_inc1ILb0ELi1024EdPKdS1_PdEvimT2_lT3_llT4_llli, .Lfunc_end10-_ZL23rocblas_syr_kernel_inc1ILb0ELi1024EdPKdS1_PdEvimT2_lT3_llT4_llli
                                        ; -- End function
	.set _ZL23rocblas_syr_kernel_inc1ILb0ELi1024EdPKdS1_PdEvimT2_lT3_llT4_llli.num_vgpr, 14
	.set _ZL23rocblas_syr_kernel_inc1ILb0ELi1024EdPKdS1_PdEvimT2_lT3_llT4_llli.num_agpr, 0
	.set _ZL23rocblas_syr_kernel_inc1ILb0ELi1024EdPKdS1_PdEvimT2_lT3_llT4_llli.numbered_sgpr, 32
	.set _ZL23rocblas_syr_kernel_inc1ILb0ELi1024EdPKdS1_PdEvimT2_lT3_llT4_llli.num_named_barrier, 0
	.set _ZL23rocblas_syr_kernel_inc1ILb0ELi1024EdPKdS1_PdEvimT2_lT3_llT4_llli.private_seg_size, 0
	.set _ZL23rocblas_syr_kernel_inc1ILb0ELi1024EdPKdS1_PdEvimT2_lT3_llT4_llli.uses_vcc, 1
	.set _ZL23rocblas_syr_kernel_inc1ILb0ELi1024EdPKdS1_PdEvimT2_lT3_llT4_llli.uses_flat_scratch, 0
	.set _ZL23rocblas_syr_kernel_inc1ILb0ELi1024EdPKdS1_PdEvimT2_lT3_llT4_llli.has_dyn_sized_stack, 0
	.set _ZL23rocblas_syr_kernel_inc1ILb0ELi1024EdPKdS1_PdEvimT2_lT3_llT4_llli.has_recursion, 0
	.set _ZL23rocblas_syr_kernel_inc1ILb0ELi1024EdPKdS1_PdEvimT2_lT3_llT4_llli.has_indirect_call, 0
	.section	.AMDGPU.csdata,"",@progbits
; Kernel info:
; codeLenInByte = 716
; TotalNumSgprs: 34
; NumVgprs: 14
; ScratchSize: 0
; MemoryBound: 0
; FloatMode: 240
; IeeeMode: 1
; LDSByteSize: 0 bytes/workgroup (compile time only)
; SGPRBlocks: 0
; VGPRBlocks: 0
; NumSGPRsForWavesPerEU: 34
; NumVGPRsForWavesPerEU: 14
; NamedBarCnt: 0
; Occupancy: 16
; WaveLimiterHint : 0
; COMPUTE_PGM_RSRC2:SCRATCH_EN: 0
; COMPUTE_PGM_RSRC2:USER_SGPR: 2
; COMPUTE_PGM_RSRC2:TRAP_HANDLER: 0
; COMPUTE_PGM_RSRC2:TGID_X_EN: 1
; COMPUTE_PGM_RSRC2:TGID_Y_EN: 0
; COMPUTE_PGM_RSRC2:TGID_Z_EN: 1
; COMPUTE_PGM_RSRC2:TIDIG_COMP_CNT: 0
	.section	.text._ZL18rocblas_syr_kernelILb0ELi1024EdPKdS1_PdEvimT2_lT3_lllT4_llli,"axG",@progbits,_ZL18rocblas_syr_kernelILb0ELi1024EdPKdS1_PdEvimT2_lT3_lllT4_llli,comdat
	.globl	_ZL18rocblas_syr_kernelILb0ELi1024EdPKdS1_PdEvimT2_lT3_lllT4_llli ; -- Begin function _ZL18rocblas_syr_kernelILb0ELi1024EdPKdS1_PdEvimT2_lT3_lllT4_llli
	.p2align	8
	.type	_ZL18rocblas_syr_kernelILb0ELi1024EdPKdS1_PdEvimT2_lT3_lllT4_llli,@function
_ZL18rocblas_syr_kernelILb0ELi1024EdPKdS1_PdEvimT2_lT3_lllT4_llli: ; @_ZL18rocblas_syr_kernelILb0ELi1024EdPKdS1_PdEvimT2_lT3_lllT4_llli
; %bb.0:
	s_load_b32 s26, s[0:1], 0x60
	s_bfe_u32 s2, ttmp6, 0x40014
	s_lshr_b32 s3, ttmp7, 16
	s_add_co_i32 s2, s2, 1
	s_bfe_u32 s4, ttmp6, 0x40008
	s_mul_i32 s2, s3, s2
	s_getreg_b32 s27, hwreg(HW_REG_IB_STS2, 6, 4)
	s_add_co_i32 s4, s4, s2
	s_cmp_eq_u32 s27, 0
	s_cselect_b32 s2, s3, s4
	s_mov_b32 s3, 0
	s_wait_kmcnt 0x0
	s_cmp_ge_u32 s2, s26
	s_cbranch_scc1 .LBB11_7
; %bb.1:
	s_clause 0x3
	s_load_b128 s[20:23], s[0:1], 0x48
	s_load_b512 s[4:19], s[0:1], 0x8
	s_load_b32 s30, s[0:1], 0x0
	s_load_b64 s[24:25], s[0:1], 0x58
	s_bfe_u32 s28, ttmp6, 0x4000c
	s_and_b32 s29, ttmp6, 15
	s_add_co_i32 s28, s28, 1
	v_mov_b32_e32 v1, 0
	s_mul_i32 s28, ttmp9, s28
	s_wait_xcnt 0x0
	s_add_nc_u64 s[0:1], s[0:1], 0x68
	s_add_co_i32 s31, s29, s28
	s_wait_kmcnt 0x0
	s_lshl_b64 s[20:21], s[20:21], 3
	s_lshl_b64 s[28:29], s[12:13], 3
	s_cmp_eq_u32 s27, 0
	s_add_nc_u64 s[12:13], s[18:19], s[20:21]
	s_add_nc_u64 s[10:11], s[10:11], s[28:29]
	s_cselect_b32 s18, ttmp9, s31
	s_add_co_i32 s19, s30, -1
	s_branch .LBB11_4
.LBB11_2:                               ;   in Loop: Header=BB11_4 Depth=1
	s_wait_xcnt 0x0
	s_or_b32 exec_lo, exec_lo, s20
.LBB11_3:                               ;   in Loop: Header=BB11_4 Depth=1
	s_add_co_i32 s2, s2, 0x10000
	s_delay_alu instid0(SALU_CYCLE_1)
	s_cmp_lt_u32 s2, s26
	s_cbranch_scc0 .LBB11_7
.LBB11_4:                               ; =>This Inner Loop Header: Depth=1
	s_wait_xcnt 0x0
	s_mul_u64 s[20:21], s[8:9], s[2:3]
	s_delay_alu instid0(SALU_CYCLE_1) | instskip(NEXT) | instid1(SALU_CYCLE_1)
	s_lshl_b64 s[20:21], s[20:21], 3
	s_add_nc_u64 s[20:21], s[6:7], s[20:21]
	global_load_b64 v[2:3], v1, s[20:21]
	s_wait_loadcnt 0x0
	v_cmp_eq_f64_e32 vcc_lo, 0, v[2:3]
	s_cbranch_vccnz .LBB11_3
; %bb.5:                                ;   in Loop: Header=BB11_4 Depth=1
	s_wait_xcnt 0x0
	s_load_b32 s20, s[0:1], 0xc
	s_wait_kmcnt 0x0
	s_and_b32 s20, s20, 0xffff
	s_delay_alu instid0(SALU_CYCLE_1) | instskip(SKIP_1) | instid1(VALU_DEP_1)
	v_mad_nc_u64_u32 v[4:5], s20, s18, v[0:1]
	s_mov_b32 s20, exec_lo
	v_cmpx_gt_u64_e64 s[4:5], v[4:5]
	s_cbranch_execz .LBB11_2
; %bb.6:                                ;   in Loop: Header=BB11_4 Depth=1
	v_not_b32_e32 v5, v5
	v_not_b32_e32 v4, v4
	s_mul_u64 s[28:29], s[16:17], s[2:3]
	s_mul_u64 s[30:31], s[24:25], s[2:3]
	s_lshl_b64 s[28:29], s[28:29], 3
	s_lshl_b64 s[30:31], s[30:31], 3
	v_add_nc_u64_e32 v[4:5], s[4:5], v[4:5]
	s_add_nc_u64 s[28:29], s[10:11], s[28:29]
	s_add_nc_u64 s[30:31], s[12:13], s[30:31]
	s_delay_alu instid0(VALU_DEP_1) | instskip(SKIP_1) | instid1(VALU_DEP_2)
	v_lshlrev_b64_e32 v[6:7], 3, v[4:5]
	v_sub_nc_u32_e32 v4, s19, v4
	v_cvt_f64_u32_e32 v[8:9], v7
	s_delay_alu instid0(VALU_DEP_3) | instskip(NEXT) | instid1(VALU_DEP_1)
	v_or_b32_e32 v5, 1, v6
	v_cvt_f64_u32_e32 v[6:7], v5
	s_delay_alu instid0(VALU_DEP_3) | instskip(NEXT) | instid1(VALU_DEP_1)
	v_ldexp_f64 v[8:9], v[8:9], 32
	v_add_f64_e32 v[6:7], v[8:9], v[6:7]
	s_delay_alu instid0(VALU_DEP_1) | instskip(SKIP_1) | instid1(VALU_DEP_1)
	v_cmp_gt_f64_e32 vcc_lo, 0x10000000, v[6:7]
	v_cndmask_b32_e64 v5, 0, 0x100, vcc_lo
	v_ldexp_f64 v[6:7], v[6:7], v5
	v_cndmask_b32_e64 v5, 0, 0xffffff80, vcc_lo
	s_delay_alu instid0(VALU_DEP_2) | instskip(SKIP_1) | instid1(TRANS32_DEP_1)
	v_rsq_f64_e32 v[8:9], v[6:7]
	v_cmp_class_f64_e64 vcc_lo, v[6:7], 0x260
	v_mul_f64_e32 v[10:11], v[6:7], v[8:9]
	v_mul_f64_e32 v[8:9], 0.5, v[8:9]
	s_delay_alu instid0(VALU_DEP_1) | instskip(NEXT) | instid1(VALU_DEP_1)
	v_fma_f64 v[12:13], -v[8:9], v[10:11], 0.5
	v_fmac_f64_e32 v[10:11], v[10:11], v[12:13]
	v_fmac_f64_e32 v[8:9], v[8:9], v[12:13]
	s_delay_alu instid0(VALU_DEP_2) | instskip(NEXT) | instid1(VALU_DEP_1)
	v_fma_f64 v[12:13], -v[10:11], v[10:11], v[6:7]
	v_fmac_f64_e32 v[10:11], v[12:13], v[8:9]
	s_delay_alu instid0(VALU_DEP_1) | instskip(NEXT) | instid1(VALU_DEP_1)
	v_fma_f64 v[12:13], -v[10:11], v[10:11], v[6:7]
	v_fmac_f64_e32 v[10:11], v[12:13], v[8:9]
	s_delay_alu instid0(VALU_DEP_1) | instskip(NEXT) | instid1(VALU_DEP_1)
	v_ldexp_f64 v[8:9], v[10:11], v5
	v_dual_cndmask_b32 v7, v9, v7 :: v_dual_cndmask_b32 v6, v8, v6
	s_delay_alu instid0(VALU_DEP_1) | instskip(NEXT) | instid1(VALU_DEP_1)
	v_add_f64_e32 v[6:7], -1.0, v[6:7]
	v_mul_f64_e32 v[6:7], 0.5, v[6:7]
	s_delay_alu instid0(VALU_DEP_1) | instskip(NEXT) | instid1(VALU_DEP_1)
	v_cvt_i32_f64_e32 v8, v[6:7]
	v_mad_u32 v5, v8, v8, v8
	s_delay_alu instid0(VALU_DEP_1) | instskip(NEXT) | instid1(VALU_DEP_1)
	v_lshrrev_b32_e32 v6, 31, v5
	v_add_nc_u32_e32 v5, v5, v6
	s_delay_alu instid0(VALU_DEP_1) | instskip(NEXT) | instid1(VALU_DEP_1)
	v_ashrrev_i32_e32 v5, 1, v5
	v_add_nc_u32_e32 v4, v4, v5
	s_delay_alu instid0(VALU_DEP_1) | instskip(NEXT) | instid1(VALU_DEP_1)
	v_ashrrev_i32_e32 v5, 31, v4
	v_mul_u64_e32 v[6:7], s[14:15], v[4:5]
	s_delay_alu instid0(VALU_DEP_1) | instskip(SKIP_3) | instid1(VALU_DEP_1)
	v_lshl_add_u64 v[6:7], v[6:7], 3, s[28:29]
	global_load_b64 v[6:7], v[6:7], off
	s_wait_loadcnt 0x0
	v_dual_mul_f64 v[2:3], v[2:3], v[6:7] :: v_dual_sub_nc_u32 v8, s19, v8
	v_ashrrev_i32_e32 v9, 31, v8
	s_delay_alu instid0(VALU_DEP_1) | instskip(SKIP_1) | instid1(VALU_DEP_2)
	v_mul_u64_e32 v[10:11], s[22:23], v[8:9]
	v_mul_u64_e32 v[8:9], s[14:15], v[8:9]
	v_lshl_add_u64 v[10:11], v[10:11], 3, s[30:31]
	s_delay_alu instid0(VALU_DEP_2) | instskip(NEXT) | instid1(VALU_DEP_2)
	v_lshl_add_u64 v[8:9], v[8:9], 3, s[28:29]
	v_lshl_add_u64 v[4:5], v[4:5], 3, v[10:11]
	global_load_b64 v[10:11], v[8:9], off
	global_load_b64 v[12:13], v[4:5], off
	s_wait_loadcnt 0x0
	v_fmac_f64_e32 v[12:13], v[2:3], v[10:11]
	global_store_b64 v[4:5], v[12:13], off
	s_branch .LBB11_2
.LBB11_7:
	s_endpgm
	.section	.rodata,"a",@progbits
	.p2align	6, 0x0
	.amdhsa_kernel _ZL18rocblas_syr_kernelILb0ELi1024EdPKdS1_PdEvimT2_lT3_lllT4_llli
		.amdhsa_group_segment_fixed_size 0
		.amdhsa_private_segment_fixed_size 0
		.amdhsa_kernarg_size 360
		.amdhsa_user_sgpr_count 2
		.amdhsa_user_sgpr_dispatch_ptr 0
		.amdhsa_user_sgpr_queue_ptr 0
		.amdhsa_user_sgpr_kernarg_segment_ptr 1
		.amdhsa_user_sgpr_dispatch_id 0
		.amdhsa_user_sgpr_kernarg_preload_length 0
		.amdhsa_user_sgpr_kernarg_preload_offset 0
		.amdhsa_user_sgpr_private_segment_size 0
		.amdhsa_wavefront_size32 1
		.amdhsa_uses_dynamic_stack 0
		.amdhsa_enable_private_segment 0
		.amdhsa_system_sgpr_workgroup_id_x 1
		.amdhsa_system_sgpr_workgroup_id_y 0
		.amdhsa_system_sgpr_workgroup_id_z 1
		.amdhsa_system_sgpr_workgroup_info 0
		.amdhsa_system_vgpr_workitem_id 0
		.amdhsa_next_free_vgpr 14
		.amdhsa_next_free_sgpr 32
		.amdhsa_named_barrier_count 0
		.amdhsa_reserve_vcc 1
		.amdhsa_float_round_mode_32 0
		.amdhsa_float_round_mode_16_64 0
		.amdhsa_float_denorm_mode_32 3
		.amdhsa_float_denorm_mode_16_64 3
		.amdhsa_fp16_overflow 0
		.amdhsa_memory_ordered 1
		.amdhsa_forward_progress 1
		.amdhsa_inst_pref_size 6
		.amdhsa_round_robin_scheduling 0
		.amdhsa_exception_fp_ieee_invalid_op 0
		.amdhsa_exception_fp_denorm_src 0
		.amdhsa_exception_fp_ieee_div_zero 0
		.amdhsa_exception_fp_ieee_overflow 0
		.amdhsa_exception_fp_ieee_underflow 0
		.amdhsa_exception_fp_ieee_inexact 0
		.amdhsa_exception_int_div_zero 0
	.end_amdhsa_kernel
	.section	.text._ZL18rocblas_syr_kernelILb0ELi1024EdPKdS1_PdEvimT2_lT3_lllT4_llli,"axG",@progbits,_ZL18rocblas_syr_kernelILb0ELi1024EdPKdS1_PdEvimT2_lT3_lllT4_llli,comdat
.Lfunc_end11:
	.size	_ZL18rocblas_syr_kernelILb0ELi1024EdPKdS1_PdEvimT2_lT3_lllT4_llli, .Lfunc_end11-_ZL18rocblas_syr_kernelILb0ELi1024EdPKdS1_PdEvimT2_lT3_lllT4_llli
                                        ; -- End function
	.set _ZL18rocblas_syr_kernelILb0ELi1024EdPKdS1_PdEvimT2_lT3_lllT4_llli.num_vgpr, 14
	.set _ZL18rocblas_syr_kernelILb0ELi1024EdPKdS1_PdEvimT2_lT3_lllT4_llli.num_agpr, 0
	.set _ZL18rocblas_syr_kernelILb0ELi1024EdPKdS1_PdEvimT2_lT3_lllT4_llli.numbered_sgpr, 32
	.set _ZL18rocblas_syr_kernelILb0ELi1024EdPKdS1_PdEvimT2_lT3_lllT4_llli.num_named_barrier, 0
	.set _ZL18rocblas_syr_kernelILb0ELi1024EdPKdS1_PdEvimT2_lT3_lllT4_llli.private_seg_size, 0
	.set _ZL18rocblas_syr_kernelILb0ELi1024EdPKdS1_PdEvimT2_lT3_lllT4_llli.uses_vcc, 1
	.set _ZL18rocblas_syr_kernelILb0ELi1024EdPKdS1_PdEvimT2_lT3_lllT4_llli.uses_flat_scratch, 0
	.set _ZL18rocblas_syr_kernelILb0ELi1024EdPKdS1_PdEvimT2_lT3_lllT4_llli.has_dyn_sized_stack, 0
	.set _ZL18rocblas_syr_kernelILb0ELi1024EdPKdS1_PdEvimT2_lT3_lllT4_llli.has_recursion, 0
	.set _ZL18rocblas_syr_kernelILb0ELi1024EdPKdS1_PdEvimT2_lT3_lllT4_llli.has_indirect_call, 0
	.section	.AMDGPU.csdata,"",@progbits
; Kernel info:
; codeLenInByte = 728
; TotalNumSgprs: 34
; NumVgprs: 14
; ScratchSize: 0
; MemoryBound: 0
; FloatMode: 240
; IeeeMode: 1
; LDSByteSize: 0 bytes/workgroup (compile time only)
; SGPRBlocks: 0
; VGPRBlocks: 0
; NumSGPRsForWavesPerEU: 34
; NumVGPRsForWavesPerEU: 14
; NamedBarCnt: 0
; Occupancy: 16
; WaveLimiterHint : 0
; COMPUTE_PGM_RSRC2:SCRATCH_EN: 0
; COMPUTE_PGM_RSRC2:USER_SGPR: 2
; COMPUTE_PGM_RSRC2:TRAP_HANDLER: 0
; COMPUTE_PGM_RSRC2:TGID_X_EN: 1
; COMPUTE_PGM_RSRC2:TGID_Y_EN: 0
; COMPUTE_PGM_RSRC2:TGID_Z_EN: 1
; COMPUTE_PGM_RSRC2:TIDIG_COMP_CNT: 0
	.section	.text._ZL23rocblas_syr_kernel_inc1ILb1ELi1024EddPKdPdEvimT2_lT3_llT4_llli,"axG",@progbits,_ZL23rocblas_syr_kernel_inc1ILb1ELi1024EddPKdPdEvimT2_lT3_llT4_llli,comdat
	.globl	_ZL23rocblas_syr_kernel_inc1ILb1ELi1024EddPKdPdEvimT2_lT3_llT4_llli ; -- Begin function _ZL23rocblas_syr_kernel_inc1ILb1ELi1024EddPKdPdEvimT2_lT3_llT4_llli
	.p2align	8
	.type	_ZL23rocblas_syr_kernel_inc1ILb1ELi1024EddPKdPdEvimT2_lT3_llT4_llli,@function
_ZL23rocblas_syr_kernel_inc1ILb1ELi1024EddPKdPdEvimT2_lT3_llT4_llli: ; @_ZL23rocblas_syr_kernel_inc1ILb1ELi1024EddPKdPdEvimT2_lT3_llT4_llli
; %bb.0:
	s_load_b32 s24, s[0:1], 0x58
	s_bfe_u32 s2, ttmp6, 0x40014
	s_lshr_b32 s3, ttmp7, 16
	s_add_co_i32 s2, s2, 1
	s_bfe_u32 s4, ttmp6, 0x40008
	s_mul_i32 s2, s3, s2
	s_getreg_b32 s25, hwreg(HW_REG_IB_STS2, 6, 4)
	s_add_co_i32 s4, s4, s2
	s_cmp_eq_u32 s25, 0
	s_cselect_b32 s2, s3, s4
	s_mov_b32 s3, 0
	s_wait_kmcnt 0x0
	s_cmp_ge_u32 s2, s24
	s_cbranch_scc1 .LBB12_7
; %bb.1:
	s_clause 0x2
	s_load_b256 s[4:11], s[0:1], 0x40
	s_load_b256 s[12:19], s[0:1], 0x20
	s_load_b128 s[20:23], s[0:1], 0x8
	s_wait_kmcnt 0x0
	s_bfe_u32 s10, ttmp6, 0x4000c
	s_and_b32 s11, ttmp6, 15
	s_add_co_i32 s10, s10, 1
	v_mov_b32_e32 v1, 0
	s_mul_i32 s10, ttmp9, s10
	s_add_nc_u64 s[0:1], s[0:1], 0x60
	s_add_co_i32 s26, s11, s10
	s_lshl_b64 s[4:5], s[4:5], 3
	s_lshl_b64 s[10:11], s[14:15], 3
	v_cmp_neq_f64_e64 s14, s[22:23], 0
	s_cmp_eq_u32 s25, 0
	s_add_nc_u64 s[4:5], s[18:19], s[4:5]
	s_add_nc_u64 s[10:11], s[12:13], s[10:11]
	s_cselect_b32 s12, ttmp9, s26
	s_branch .LBB12_4
.LBB12_2:                               ;   in Loop: Header=BB12_4 Depth=1
	s_wait_xcnt 0x0
	s_or_b32 exec_lo, exec_lo, s13
.LBB12_3:                               ;   in Loop: Header=BB12_4 Depth=1
	s_add_co_i32 s2, s2, 0x10000
	s_delay_alu instid0(SALU_CYCLE_1)
	s_cmp_lt_u32 s2, s24
	s_cbranch_scc0 .LBB12_7
.LBB12_4:                               ; =>This Inner Loop Header: Depth=1
	s_and_not1_b32 vcc_lo, exec_lo, s14
	s_cbranch_vccnz .LBB12_3
; %bb.5:                                ;   in Loop: Header=BB12_4 Depth=1
	s_load_b32 s13, s[0:1], 0xc
	s_wait_kmcnt 0x0
	s_and_b32 s13, s13, 0xffff
	s_delay_alu instid0(SALU_CYCLE_1) | instskip(SKIP_1) | instid1(VALU_DEP_1)
	v_mad_nc_u64_u32 v[2:3], s13, s12, v[0:1]
	s_mov_b32 s13, exec_lo
	v_cmpx_gt_u64_e64 s[20:21], v[2:3]
	s_cbranch_execz .LBB12_2
; %bb.6:                                ;   in Loop: Header=BB12_4 Depth=1
	v_lshlrev_b64_e32 v[4:5], 3, v[2:3]
	s_mul_u64 s[18:19], s[16:17], s[2:3]
	s_mul_u64 s[26:27], s[8:9], s[2:3]
	s_lshl_b64 s[18:19], s[18:19], 3
	s_lshl_b64 s[26:27], s[26:27], 3
	s_add_nc_u64 s[18:19], s[10:11], s[18:19]
	s_add_nc_u64 s[26:27], s[4:5], s[26:27]
	v_cvt_f64_u32_e32 v[6:7], v5
	v_or_b32_e32 v3, 1, v4
	s_delay_alu instid0(VALU_DEP_1) | instskip(NEXT) | instid1(VALU_DEP_3)
	v_cvt_f64_u32_e32 v[4:5], v3
	v_ldexp_f64 v[6:7], v[6:7], 32
	s_delay_alu instid0(VALU_DEP_1) | instskip(NEXT) | instid1(VALU_DEP_1)
	v_add_f64_e32 v[4:5], v[6:7], v[4:5]
	v_cmp_gt_f64_e32 vcc_lo, 0x10000000, v[4:5]
	v_cndmask_b32_e64 v3, 0, 0x100, vcc_lo
	s_delay_alu instid0(VALU_DEP_1) | instskip(SKIP_1) | instid1(VALU_DEP_2)
	v_ldexp_f64 v[4:5], v[4:5], v3
	v_cndmask_b32_e64 v3, 0, 0xffffff80, vcc_lo
	v_rsq_f64_e32 v[6:7], v[4:5]
	v_cmp_class_f64_e64 vcc_lo, v[4:5], 0x260
	s_delay_alu instid0(TRANS32_DEP_1) | instskip(SKIP_1) | instid1(VALU_DEP_1)
	v_mul_f64_e32 v[8:9], v[4:5], v[6:7]
	v_mul_f64_e32 v[6:7], 0.5, v[6:7]
	v_fma_f64 v[10:11], -v[6:7], v[8:9], 0.5
	s_delay_alu instid0(VALU_DEP_1) | instskip(SKIP_1) | instid1(VALU_DEP_2)
	v_fmac_f64_e32 v[8:9], v[8:9], v[10:11]
	v_fmac_f64_e32 v[6:7], v[6:7], v[10:11]
	v_fma_f64 v[10:11], -v[8:9], v[8:9], v[4:5]
	s_delay_alu instid0(VALU_DEP_1) | instskip(NEXT) | instid1(VALU_DEP_1)
	v_fmac_f64_e32 v[8:9], v[10:11], v[6:7]
	v_fma_f64 v[10:11], -v[8:9], v[8:9], v[4:5]
	s_delay_alu instid0(VALU_DEP_1) | instskip(NEXT) | instid1(VALU_DEP_1)
	v_fmac_f64_e32 v[8:9], v[10:11], v[6:7]
	v_ldexp_f64 v[6:7], v[8:9], v3
	s_delay_alu instid0(VALU_DEP_1) | instskip(NEXT) | instid1(VALU_DEP_1)
	v_dual_cndmask_b32 v5, v7, v5 :: v_dual_cndmask_b32 v4, v6, v4
	v_add_f64_e32 v[4:5], -1.0, v[4:5]
	s_delay_alu instid0(VALU_DEP_1) | instskip(NEXT) | instid1(VALU_DEP_1)
	v_mul_f64_e32 v[4:5], 0.5, v[4:5]
	v_cvt_i32_f64_e32 v4, v[4:5]
	s_delay_alu instid0(VALU_DEP_1) | instskip(NEXT) | instid1(VALU_DEP_1)
	v_mad_u32 v3, v4, v4, v4
	v_lshrrev_b32_e32 v5, 31, v3
	s_delay_alu instid0(VALU_DEP_1) | instskip(NEXT) | instid1(VALU_DEP_1)
	v_dual_add_nc_u32 v3, v3, v5 :: v_dual_ashrrev_i32 v5, 31, v4
	v_ashrrev_i32_e32 v3, 1, v3
	s_delay_alu instid0(VALU_DEP_2) | instskip(NEXT) | instid1(VALU_DEP_2)
	v_mul_u64_e32 v[6:7], s[6:7], v[4:5]
	v_sub_nc_u32_e32 v2, v2, v3
	global_load_b64 v[8:9], v2, s[18:19] scale_offset
	v_ashrrev_i32_e32 v3, 31, v2
	v_lshl_add_u64 v[6:7], v[6:7], 3, s[26:27]
	s_wait_xcnt 0x0
	s_delay_alu instid0(VALU_DEP_1)
	v_lshl_add_u64 v[2:3], v[2:3], 3, v[6:7]
	global_load_b64 v[6:7], v4, s[18:19] scale_offset
	global_load_b64 v[10:11], v[2:3], off
	s_wait_loadcnt 0x2
	s_wait_xcnt 0x1
	v_mul_f64_e32 v[4:5], s[22:23], v[8:9]
	s_wait_loadcnt 0x0
	s_delay_alu instid0(VALU_DEP_1)
	v_fmac_f64_e32 v[10:11], v[4:5], v[6:7]
	global_store_b64 v[2:3], v[10:11], off
	s_branch .LBB12_2
.LBB12_7:
	s_endpgm
	.section	.rodata,"a",@progbits
	.p2align	6, 0x0
	.amdhsa_kernel _ZL23rocblas_syr_kernel_inc1ILb1ELi1024EddPKdPdEvimT2_lT3_llT4_llli
		.amdhsa_group_segment_fixed_size 0
		.amdhsa_private_segment_fixed_size 0
		.amdhsa_kernarg_size 352
		.amdhsa_user_sgpr_count 2
		.amdhsa_user_sgpr_dispatch_ptr 0
		.amdhsa_user_sgpr_queue_ptr 0
		.amdhsa_user_sgpr_kernarg_segment_ptr 1
		.amdhsa_user_sgpr_dispatch_id 0
		.amdhsa_user_sgpr_kernarg_preload_length 0
		.amdhsa_user_sgpr_kernarg_preload_offset 0
		.amdhsa_user_sgpr_private_segment_size 0
		.amdhsa_wavefront_size32 1
		.amdhsa_uses_dynamic_stack 0
		.amdhsa_enable_private_segment 0
		.amdhsa_system_sgpr_workgroup_id_x 1
		.amdhsa_system_sgpr_workgroup_id_y 0
		.amdhsa_system_sgpr_workgroup_id_z 1
		.amdhsa_system_sgpr_workgroup_info 0
		.amdhsa_system_vgpr_workitem_id 0
		.amdhsa_next_free_vgpr 12
		.amdhsa_next_free_sgpr 28
		.amdhsa_named_barrier_count 0
		.amdhsa_reserve_vcc 1
		.amdhsa_float_round_mode_32 0
		.amdhsa_float_round_mode_16_64 0
		.amdhsa_float_denorm_mode_32 3
		.amdhsa_float_denorm_mode_16_64 3
		.amdhsa_fp16_overflow 0
		.amdhsa_memory_ordered 1
		.amdhsa_forward_progress 1
		.amdhsa_inst_pref_size 5
		.amdhsa_round_robin_scheduling 0
		.amdhsa_exception_fp_ieee_invalid_op 0
		.amdhsa_exception_fp_denorm_src 0
		.amdhsa_exception_fp_ieee_div_zero 0
		.amdhsa_exception_fp_ieee_overflow 0
		.amdhsa_exception_fp_ieee_underflow 0
		.amdhsa_exception_fp_ieee_inexact 0
		.amdhsa_exception_int_div_zero 0
	.end_amdhsa_kernel
	.section	.text._ZL23rocblas_syr_kernel_inc1ILb1ELi1024EddPKdPdEvimT2_lT3_llT4_llli,"axG",@progbits,_ZL23rocblas_syr_kernel_inc1ILb1ELi1024EddPKdPdEvimT2_lT3_llT4_llli,comdat
.Lfunc_end12:
	.size	_ZL23rocblas_syr_kernel_inc1ILb1ELi1024EddPKdPdEvimT2_lT3_llT4_llli, .Lfunc_end12-_ZL23rocblas_syr_kernel_inc1ILb1ELi1024EddPKdPdEvimT2_lT3_llT4_llli
                                        ; -- End function
	.set _ZL23rocblas_syr_kernel_inc1ILb1ELi1024EddPKdPdEvimT2_lT3_llT4_llli.num_vgpr, 12
	.set _ZL23rocblas_syr_kernel_inc1ILb1ELi1024EddPKdPdEvimT2_lT3_llT4_llli.num_agpr, 0
	.set _ZL23rocblas_syr_kernel_inc1ILb1ELi1024EddPKdPdEvimT2_lT3_llT4_llli.numbered_sgpr, 28
	.set _ZL23rocblas_syr_kernel_inc1ILb1ELi1024EddPKdPdEvimT2_lT3_llT4_llli.num_named_barrier, 0
	.set _ZL23rocblas_syr_kernel_inc1ILb1ELi1024EddPKdPdEvimT2_lT3_llT4_llli.private_seg_size, 0
	.set _ZL23rocblas_syr_kernel_inc1ILb1ELi1024EddPKdPdEvimT2_lT3_llT4_llli.uses_vcc, 1
	.set _ZL23rocblas_syr_kernel_inc1ILb1ELi1024EddPKdPdEvimT2_lT3_llT4_llli.uses_flat_scratch, 0
	.set _ZL23rocblas_syr_kernel_inc1ILb1ELi1024EddPKdPdEvimT2_lT3_llT4_llli.has_dyn_sized_stack, 0
	.set _ZL23rocblas_syr_kernel_inc1ILb1ELi1024EddPKdPdEvimT2_lT3_llT4_llli.has_recursion, 0
	.set _ZL23rocblas_syr_kernel_inc1ILb1ELi1024EddPKdPdEvimT2_lT3_llT4_llli.has_indirect_call, 0
	.section	.AMDGPU.csdata,"",@progbits
; Kernel info:
; codeLenInByte = 632
; TotalNumSgprs: 30
; NumVgprs: 12
; ScratchSize: 0
; MemoryBound: 0
; FloatMode: 240
; IeeeMode: 1
; LDSByteSize: 0 bytes/workgroup (compile time only)
; SGPRBlocks: 0
; VGPRBlocks: 0
; NumSGPRsForWavesPerEU: 30
; NumVGPRsForWavesPerEU: 12
; NamedBarCnt: 0
; Occupancy: 16
; WaveLimiterHint : 0
; COMPUTE_PGM_RSRC2:SCRATCH_EN: 0
; COMPUTE_PGM_RSRC2:USER_SGPR: 2
; COMPUTE_PGM_RSRC2:TRAP_HANDLER: 0
; COMPUTE_PGM_RSRC2:TGID_X_EN: 1
; COMPUTE_PGM_RSRC2:TGID_Y_EN: 0
; COMPUTE_PGM_RSRC2:TGID_Z_EN: 1
; COMPUTE_PGM_RSRC2:TIDIG_COMP_CNT: 0
	.section	.text._ZL18rocblas_syr_kernelILb1ELi1024EddPKdPdEvimT2_lT3_lllT4_llli,"axG",@progbits,_ZL18rocblas_syr_kernelILb1ELi1024EddPKdPdEvimT2_lT3_lllT4_llli,comdat
	.globl	_ZL18rocblas_syr_kernelILb1ELi1024EddPKdPdEvimT2_lT3_lllT4_llli ; -- Begin function _ZL18rocblas_syr_kernelILb1ELi1024EddPKdPdEvimT2_lT3_lllT4_llli
	.p2align	8
	.type	_ZL18rocblas_syr_kernelILb1ELi1024EddPKdPdEvimT2_lT3_lllT4_llli,@function
_ZL18rocblas_syr_kernelILb1ELi1024EddPKdPdEvimT2_lT3_lllT4_llli: ; @_ZL18rocblas_syr_kernelILb1ELi1024EddPKdPdEvimT2_lT3_lllT4_llli
; %bb.0:
	s_load_b32 s24, s[0:1], 0x60
	s_bfe_u32 s2, ttmp6, 0x40014
	s_lshr_b32 s3, ttmp7, 16
	s_add_co_i32 s2, s2, 1
	s_bfe_u32 s4, ttmp6, 0x40008
	s_mul_i32 s2, s3, s2
	s_getreg_b32 s25, hwreg(HW_REG_IB_STS2, 6, 4)
	s_add_co_i32 s4, s4, s2
	s_cmp_eq_u32 s25, 0
	s_cselect_b32 s2, s3, s4
	s_mov_b32 s3, 0
	s_wait_kmcnt 0x0
	s_cmp_ge_u32 s2, s24
	s_cbranch_scc1 .LBB13_7
; %bb.1:
	s_clause 0x1
	s_load_b512 s[4:19], s[0:1], 0x20
	s_load_b128 s[20:23], s[0:1], 0x8
	s_bfe_u32 s26, ttmp6, 0x4000c
	s_and_b32 s27, ttmp6, 15
	s_add_co_i32 s26, s26, 1
	v_mov_b32_e32 v1, 0
	s_mul_i32 s26, ttmp9, s26
	s_wait_xcnt 0x0
	s_add_nc_u64 s[0:1], s[0:1], 0x68
	s_add_co_i32 s30, s27, s26
	s_wait_kmcnt 0x0
	s_lshl_b64 s[26:27], s[14:15], 3
	v_cmp_neq_f64_e64 s14, s[22:23], 0
	s_lshl_b64 s[28:29], s[6:7], 3
	s_cmp_eq_u32 s25, 0
	s_add_nc_u64 s[6:7], s[12:13], s[26:27]
	s_add_nc_u64 s[4:5], s[4:5], s[28:29]
	s_cselect_b32 s12, ttmp9, s30
	s_branch .LBB13_4
.LBB13_2:                               ;   in Loop: Header=BB13_4 Depth=1
	s_wait_xcnt 0x0
	s_or_b32 exec_lo, exec_lo, s13
.LBB13_3:                               ;   in Loop: Header=BB13_4 Depth=1
	s_add_co_i32 s2, s2, 0x10000
	s_delay_alu instid0(SALU_CYCLE_1)
	s_cmp_lt_u32 s2, s24
	s_cbranch_scc0 .LBB13_7
.LBB13_4:                               ; =>This Inner Loop Header: Depth=1
	s_and_not1_b32 vcc_lo, exec_lo, s14
	s_cbranch_vccnz .LBB13_3
; %bb.5:                                ;   in Loop: Header=BB13_4 Depth=1
	s_load_b32 s13, s[0:1], 0xc
	s_wait_kmcnt 0x0
	s_and_b32 s13, s13, 0xffff
	s_delay_alu instid0(SALU_CYCLE_1) | instskip(SKIP_1) | instid1(VALU_DEP_1)
	v_mad_nc_u64_u32 v[2:3], s13, s12, v[0:1]
	s_mov_b32 s13, exec_lo
	v_cmpx_gt_u64_e64 s[20:21], v[2:3]
	s_cbranch_execz .LBB13_2
; %bb.6:                                ;   in Loop: Header=BB13_4 Depth=1
	v_lshlrev_b64_e32 v[4:5], 3, v[2:3]
	s_mul_u64 s[26:27], s[10:11], s[2:3]
	s_mul_u64 s[28:29], s[18:19], s[2:3]
	s_lshl_b64 s[26:27], s[26:27], 3
	s_lshl_b64 s[28:29], s[28:29], 3
	s_add_nc_u64 s[26:27], s[4:5], s[26:27]
	s_add_nc_u64 s[28:29], s[6:7], s[28:29]
	v_cvt_f64_u32_e32 v[6:7], v5
	v_or_b32_e32 v3, 1, v4
	s_delay_alu instid0(VALU_DEP_1) | instskip(NEXT) | instid1(VALU_DEP_3)
	v_cvt_f64_u32_e32 v[4:5], v3
	v_ldexp_f64 v[6:7], v[6:7], 32
	s_delay_alu instid0(VALU_DEP_1) | instskip(NEXT) | instid1(VALU_DEP_1)
	v_add_f64_e32 v[4:5], v[6:7], v[4:5]
	v_cmp_gt_f64_e32 vcc_lo, 0x10000000, v[4:5]
	v_cndmask_b32_e64 v3, 0, 0x100, vcc_lo
	s_delay_alu instid0(VALU_DEP_1) | instskip(SKIP_1) | instid1(VALU_DEP_2)
	v_ldexp_f64 v[4:5], v[4:5], v3
	v_cndmask_b32_e64 v3, 0, 0xffffff80, vcc_lo
	v_rsq_f64_e32 v[6:7], v[4:5]
	v_cmp_class_f64_e64 vcc_lo, v[4:5], 0x260
	s_delay_alu instid0(TRANS32_DEP_1) | instskip(SKIP_1) | instid1(VALU_DEP_1)
	v_mul_f64_e32 v[8:9], v[4:5], v[6:7]
	v_mul_f64_e32 v[6:7], 0.5, v[6:7]
	v_fma_f64 v[10:11], -v[6:7], v[8:9], 0.5
	s_delay_alu instid0(VALU_DEP_1) | instskip(SKIP_1) | instid1(VALU_DEP_2)
	v_fmac_f64_e32 v[8:9], v[8:9], v[10:11]
	v_fmac_f64_e32 v[6:7], v[6:7], v[10:11]
	v_fma_f64 v[10:11], -v[8:9], v[8:9], v[4:5]
	s_delay_alu instid0(VALU_DEP_1) | instskip(NEXT) | instid1(VALU_DEP_1)
	v_fmac_f64_e32 v[8:9], v[10:11], v[6:7]
	v_fma_f64 v[10:11], -v[8:9], v[8:9], v[4:5]
	s_delay_alu instid0(VALU_DEP_1) | instskip(NEXT) | instid1(VALU_DEP_1)
	v_fmac_f64_e32 v[8:9], v[10:11], v[6:7]
	v_ldexp_f64 v[6:7], v[8:9], v3
	s_delay_alu instid0(VALU_DEP_1) | instskip(NEXT) | instid1(VALU_DEP_1)
	v_dual_cndmask_b32 v5, v7, v5 :: v_dual_cndmask_b32 v4, v6, v4
	v_add_f64_e32 v[4:5], -1.0, v[4:5]
	s_delay_alu instid0(VALU_DEP_1) | instskip(NEXT) | instid1(VALU_DEP_1)
	v_mul_f64_e32 v[4:5], 0.5, v[4:5]
	v_cvt_i32_f64_e32 v4, v[4:5]
	s_delay_alu instid0(VALU_DEP_1) | instskip(NEXT) | instid1(VALU_DEP_1)
	v_mad_u32 v3, v4, v4, v4
	v_lshrrev_b32_e32 v5, 31, v3
	s_delay_alu instid0(VALU_DEP_1) | instskip(NEXT) | instid1(VALU_DEP_1)
	v_dual_add_nc_u32 v3, v3, v5 :: v_dual_ashrrev_i32 v5, 31, v4
	v_ashrrev_i32_e32 v3, 1, v3
	s_delay_alu instid0(VALU_DEP_2) | instskip(SKIP_1) | instid1(VALU_DEP_3)
	v_mul_u64_e32 v[8:9], s[16:17], v[4:5]
	v_mul_u64_e32 v[4:5], s[8:9], v[4:5]
	v_sub_nc_u32_e32 v2, v2, v3
	s_delay_alu instid0(VALU_DEP_1) | instskip(NEXT) | instid1(VALU_DEP_1)
	v_ashrrev_i32_e32 v3, 31, v2
	v_mul_u64_e32 v[6:7], s[8:9], v[2:3]
	v_lshl_add_u64 v[8:9], v[8:9], 3, s[28:29]
	v_lshl_add_u64 v[4:5], v[4:5], 3, s[26:27]
	s_delay_alu instid0(VALU_DEP_2) | instskip(NEXT) | instid1(VALU_DEP_4)
	v_lshl_add_u64 v[2:3], v[2:3], 3, v[8:9]
	v_lshl_add_u64 v[6:7], v[6:7], 3, s[26:27]
	s_clause 0x1
	global_load_b64 v[6:7], v[6:7], off
	global_load_b64 v[8:9], v[4:5], off
	;; [unrolled: 1-line block ×3, first 2 shown]
	s_wait_loadcnt 0x2
	s_wait_xcnt 0x1
	v_mul_f64_e32 v[4:5], s[22:23], v[6:7]
	s_wait_loadcnt 0x0
	s_delay_alu instid0(VALU_DEP_1)
	v_fmac_f64_e32 v[10:11], v[4:5], v[8:9]
	global_store_b64 v[2:3], v[10:11], off
	s_branch .LBB13_2
.LBB13_7:
	s_endpgm
	.section	.rodata,"a",@progbits
	.p2align	6, 0x0
	.amdhsa_kernel _ZL18rocblas_syr_kernelILb1ELi1024EddPKdPdEvimT2_lT3_lllT4_llli
		.amdhsa_group_segment_fixed_size 0
		.amdhsa_private_segment_fixed_size 0
		.amdhsa_kernarg_size 360
		.amdhsa_user_sgpr_count 2
		.amdhsa_user_sgpr_dispatch_ptr 0
		.amdhsa_user_sgpr_queue_ptr 0
		.amdhsa_user_sgpr_kernarg_segment_ptr 1
		.amdhsa_user_sgpr_dispatch_id 0
		.amdhsa_user_sgpr_kernarg_preload_length 0
		.amdhsa_user_sgpr_kernarg_preload_offset 0
		.amdhsa_user_sgpr_private_segment_size 0
		.amdhsa_wavefront_size32 1
		.amdhsa_uses_dynamic_stack 0
		.amdhsa_enable_private_segment 0
		.amdhsa_system_sgpr_workgroup_id_x 1
		.amdhsa_system_sgpr_workgroup_id_y 0
		.amdhsa_system_sgpr_workgroup_id_z 1
		.amdhsa_system_sgpr_workgroup_info 0
		.amdhsa_system_vgpr_workitem_id 0
		.amdhsa_next_free_vgpr 12
		.amdhsa_next_free_sgpr 31
		.amdhsa_named_barrier_count 0
		.amdhsa_reserve_vcc 1
		.amdhsa_float_round_mode_32 0
		.amdhsa_float_round_mode_16_64 0
		.amdhsa_float_denorm_mode_32 3
		.amdhsa_float_denorm_mode_16_64 3
		.amdhsa_fp16_overflow 0
		.amdhsa_memory_ordered 1
		.amdhsa_forward_progress 1
		.amdhsa_inst_pref_size 6
		.amdhsa_round_robin_scheduling 0
		.amdhsa_exception_fp_ieee_invalid_op 0
		.amdhsa_exception_fp_denorm_src 0
		.amdhsa_exception_fp_ieee_div_zero 0
		.amdhsa_exception_fp_ieee_overflow 0
		.amdhsa_exception_fp_ieee_underflow 0
		.amdhsa_exception_fp_ieee_inexact 0
		.amdhsa_exception_int_div_zero 0
	.end_amdhsa_kernel
	.section	.text._ZL18rocblas_syr_kernelILb1ELi1024EddPKdPdEvimT2_lT3_lllT4_llli,"axG",@progbits,_ZL18rocblas_syr_kernelILb1ELi1024EddPKdPdEvimT2_lT3_lllT4_llli,comdat
.Lfunc_end13:
	.size	_ZL18rocblas_syr_kernelILb1ELi1024EddPKdPdEvimT2_lT3_lllT4_llli, .Lfunc_end13-_ZL18rocblas_syr_kernelILb1ELi1024EddPKdPdEvimT2_lT3_lllT4_llli
                                        ; -- End function
	.set _ZL18rocblas_syr_kernelILb1ELi1024EddPKdPdEvimT2_lT3_lllT4_llli.num_vgpr, 12
	.set _ZL18rocblas_syr_kernelILb1ELi1024EddPKdPdEvimT2_lT3_lllT4_llli.num_agpr, 0
	.set _ZL18rocblas_syr_kernelILb1ELi1024EddPKdPdEvimT2_lT3_lllT4_llli.numbered_sgpr, 31
	.set _ZL18rocblas_syr_kernelILb1ELi1024EddPKdPdEvimT2_lT3_lllT4_llli.num_named_barrier, 0
	.set _ZL18rocblas_syr_kernelILb1ELi1024EddPKdPdEvimT2_lT3_lllT4_llli.private_seg_size, 0
	.set _ZL18rocblas_syr_kernelILb1ELi1024EddPKdPdEvimT2_lT3_lllT4_llli.uses_vcc, 1
	.set _ZL18rocblas_syr_kernelILb1ELi1024EddPKdPdEvimT2_lT3_lllT4_llli.uses_flat_scratch, 0
	.set _ZL18rocblas_syr_kernelILb1ELi1024EddPKdPdEvimT2_lT3_lllT4_llli.has_dyn_sized_stack, 0
	.set _ZL18rocblas_syr_kernelILb1ELi1024EddPKdPdEvimT2_lT3_lllT4_llli.has_recursion, 0
	.set _ZL18rocblas_syr_kernelILb1ELi1024EddPKdPdEvimT2_lT3_lllT4_llli.has_indirect_call, 0
	.section	.AMDGPU.csdata,"",@progbits
; Kernel info:
; codeLenInByte = 656
; TotalNumSgprs: 33
; NumVgprs: 12
; ScratchSize: 0
; MemoryBound: 0
; FloatMode: 240
; IeeeMode: 1
; LDSByteSize: 0 bytes/workgroup (compile time only)
; SGPRBlocks: 0
; VGPRBlocks: 0
; NumSGPRsForWavesPerEU: 33
; NumVGPRsForWavesPerEU: 12
; NamedBarCnt: 0
; Occupancy: 16
; WaveLimiterHint : 0
; COMPUTE_PGM_RSRC2:SCRATCH_EN: 0
; COMPUTE_PGM_RSRC2:USER_SGPR: 2
; COMPUTE_PGM_RSRC2:TRAP_HANDLER: 0
; COMPUTE_PGM_RSRC2:TGID_X_EN: 1
; COMPUTE_PGM_RSRC2:TGID_Y_EN: 0
; COMPUTE_PGM_RSRC2:TGID_Z_EN: 1
; COMPUTE_PGM_RSRC2:TIDIG_COMP_CNT: 0
	.section	.text._ZL23rocblas_syr_kernel_inc1ILb0ELi1024EddPKdPdEvimT2_lT3_llT4_llli,"axG",@progbits,_ZL23rocblas_syr_kernel_inc1ILb0ELi1024EddPKdPdEvimT2_lT3_llT4_llli,comdat
	.globl	_ZL23rocblas_syr_kernel_inc1ILb0ELi1024EddPKdPdEvimT2_lT3_llT4_llli ; -- Begin function _ZL23rocblas_syr_kernel_inc1ILb0ELi1024EddPKdPdEvimT2_lT3_llT4_llli
	.p2align	8
	.type	_ZL23rocblas_syr_kernel_inc1ILb0ELi1024EddPKdPdEvimT2_lT3_llT4_llli,@function
_ZL23rocblas_syr_kernel_inc1ILb0ELi1024EddPKdPdEvimT2_lT3_llT4_llli: ; @_ZL23rocblas_syr_kernel_inc1ILb0ELi1024EddPKdPdEvimT2_lT3_llT4_llli
; %bb.0:
	s_load_b32 s26, s[0:1], 0x58
	s_bfe_u32 s2, ttmp6, 0x40014
	s_lshr_b32 s3, ttmp7, 16
	s_add_co_i32 s2, s2, 1
	s_bfe_u32 s4, ttmp6, 0x40008
	s_mul_i32 s2, s3, s2
	s_getreg_b32 s27, hwreg(HW_REG_IB_STS2, 6, 4)
	s_add_co_i32 s4, s4, s2
	s_cmp_eq_u32 s27, 0
	s_cselect_b32 s2, s3, s4
	s_mov_b32 s3, 0
	s_wait_kmcnt 0x0
	s_cmp_ge_u32 s2, s26
	s_cbranch_scc1 .LBB14_7
; %bb.1:
	s_clause 0x3
	s_load_b32 s24, s[0:1], 0x0
	s_load_b256 s[4:11], s[0:1], 0x40
	s_load_b256 s[12:19], s[0:1], 0x20
	s_load_b128 s[20:23], s[0:1], 0x8
	s_wait_kmcnt 0x0
	s_bfe_u32 s10, ttmp6, 0x4000c
	s_and_b32 s11, ttmp6, 15
	s_add_co_i32 s10, s10, 1
	v_mov_b32_e32 v1, 0
	s_mul_i32 s10, ttmp9, s10
	s_add_nc_u64 s[0:1], s[0:1], 0x60
	s_add_co_i32 s28, s11, s10
	s_ashr_i32 s25, s24, 31
	s_lshl_b64 s[4:5], s[4:5], 3
	s_lshl_b64 s[10:11], s[14:15], 3
	v_cmp_neq_f64_e64 s14, s[22:23], 0
	s_cmp_eq_u32 s27, 0
	s_add_nc_u64 s[4:5], s[18:19], s[4:5]
	s_add_nc_u64 s[10:11], s[12:13], s[10:11]
	s_cselect_b32 s12, ttmp9, s28
	s_add_co_i32 s13, s24, -1
	s_branch .LBB14_4
.LBB14_2:                               ;   in Loop: Header=BB14_4 Depth=1
	s_wait_xcnt 0x0
	s_or_b32 exec_lo, exec_lo, s15
.LBB14_3:                               ;   in Loop: Header=BB14_4 Depth=1
	s_add_co_i32 s2, s2, 0x10000
	s_delay_alu instid0(SALU_CYCLE_1)
	s_cmp_lt_u32 s2, s26
	s_cbranch_scc0 .LBB14_7
.LBB14_4:                               ; =>This Inner Loop Header: Depth=1
	s_and_not1_b32 vcc_lo, exec_lo, s14
	s_cbranch_vccnz .LBB14_3
; %bb.5:                                ;   in Loop: Header=BB14_4 Depth=1
	s_load_b32 s15, s[0:1], 0xc
	s_wait_kmcnt 0x0
	s_and_b32 s15, s15, 0xffff
	s_delay_alu instid0(SALU_CYCLE_1) | instskip(SKIP_1) | instid1(VALU_DEP_1)
	v_mad_nc_u64_u32 v[2:3], s15, s12, v[0:1]
	s_mov_b32 s15, exec_lo
	v_cmpx_gt_u64_e64 s[20:21], v[2:3]
	s_cbranch_execz .LBB14_2
; %bb.6:                                ;   in Loop: Header=BB14_4 Depth=1
	v_not_b32_e32 v3, v3
	v_not_b32_e32 v2, v2
	s_mul_u64 s[18:19], s[16:17], s[2:3]
	s_mul_u64 s[28:29], s[8:9], s[2:3]
	s_lshl_b64 s[18:19], s[18:19], 3
	s_lshl_b64 s[28:29], s[28:29], 3
	v_add_nc_u64_e32 v[2:3], s[20:21], v[2:3]
	s_add_nc_u64 s[18:19], s[10:11], s[18:19]
	s_add_nc_u64 s[28:29], s[4:5], s[28:29]
	s_delay_alu instid0(VALU_DEP_1) | instskip(NEXT) | instid1(VALU_DEP_1)
	v_lshlrev_b64_e32 v[4:5], 3, v[2:3]
	v_cvt_f64_u32_e32 v[6:7], v5
	s_delay_alu instid0(VALU_DEP_2) | instskip(NEXT) | instid1(VALU_DEP_1)
	v_or_b32_e32 v3, 1, v4
	v_cvt_f64_u32_e32 v[4:5], v3
	s_delay_alu instid0(VALU_DEP_3) | instskip(NEXT) | instid1(VALU_DEP_1)
	v_ldexp_f64 v[6:7], v[6:7], 32
	v_add_f64_e32 v[4:5], v[6:7], v[4:5]
	s_delay_alu instid0(VALU_DEP_1) | instskip(SKIP_1) | instid1(VALU_DEP_1)
	v_cmp_gt_f64_e32 vcc_lo, 0x10000000, v[4:5]
	v_cndmask_b32_e64 v3, 0, 0x100, vcc_lo
	v_ldexp_f64 v[4:5], v[4:5], v3
	v_cndmask_b32_e64 v3, 0, 0xffffff80, vcc_lo
	s_delay_alu instid0(VALU_DEP_2) | instskip(SKIP_1) | instid1(TRANS32_DEP_1)
	v_rsq_f64_e32 v[6:7], v[4:5]
	v_cmp_class_f64_e64 vcc_lo, v[4:5], 0x260
	v_mul_f64_e32 v[8:9], v[4:5], v[6:7]
	v_mul_f64_e32 v[6:7], 0.5, v[6:7]
	s_delay_alu instid0(VALU_DEP_1) | instskip(NEXT) | instid1(VALU_DEP_1)
	v_fma_f64 v[10:11], -v[6:7], v[8:9], 0.5
	v_fmac_f64_e32 v[8:9], v[8:9], v[10:11]
	v_fmac_f64_e32 v[6:7], v[6:7], v[10:11]
	s_delay_alu instid0(VALU_DEP_2) | instskip(NEXT) | instid1(VALU_DEP_1)
	v_fma_f64 v[10:11], -v[8:9], v[8:9], v[4:5]
	v_fmac_f64_e32 v[8:9], v[10:11], v[6:7]
	s_delay_alu instid0(VALU_DEP_1) | instskip(NEXT) | instid1(VALU_DEP_1)
	v_fma_f64 v[10:11], -v[8:9], v[8:9], v[4:5]
	v_fmac_f64_e32 v[8:9], v[10:11], v[6:7]
	s_delay_alu instid0(VALU_DEP_1) | instskip(NEXT) | instid1(VALU_DEP_1)
	v_ldexp_f64 v[6:7], v[8:9], v3
	v_dual_cndmask_b32 v5, v7, v5 :: v_dual_cndmask_b32 v4, v6, v4
	s_delay_alu instid0(VALU_DEP_1) | instskip(NEXT) | instid1(VALU_DEP_1)
	v_add_f64_e32 v[4:5], -1.0, v[4:5]
	v_mul_f64_e32 v[4:5], 0.5, v[4:5]
	s_delay_alu instid0(VALU_DEP_1) | instskip(NEXT) | instid1(VALU_DEP_1)
	v_cvt_i32_f64_e32 v4, v[4:5]
	v_mad_u32 v3, v4, v4, v4
	v_sub_nc_u32_e32 v6, s13, v4
	s_delay_alu instid0(VALU_DEP_1) | instskip(NEXT) | instid1(VALU_DEP_1)
	v_dual_ashrrev_i32 v7, 31, v6 :: v_dual_lshrrev_b32 v5, 31, v3
	v_dual_add_nc_u32 v3, v3, v5 :: v_dual_sub_nc_u32 v5, s13, v2
	s_delay_alu instid0(VALU_DEP_1) | instskip(NEXT) | instid1(VALU_DEP_3)
	v_ashrrev_i32_e32 v8, 1, v3
	v_mul_u64_e32 v[2:3], s[6:7], v[6:7]
	s_delay_alu instid0(VALU_DEP_2) | instskip(SKIP_4) | instid1(VALU_DEP_2)
	v_add_nc_u32_e32 v6, v5, v8
	v_ashrrev_i32_e32 v5, 31, v4
	global_load_b64 v[8:9], v6, s[18:19] scale_offset
	v_sub_nc_u64_e32 v[4:5], s[24:25], v[4:5]
	v_ashrrev_i32_e32 v7, 31, v6
	v_lshl_add_u64 v[4:5], v[4:5], 3, s[18:19]
	v_lshl_add_u64 v[2:3], v[2:3], 3, s[28:29]
	s_delay_alu instid0(VALU_DEP_1)
	v_lshl_add_u64 v[2:3], v[6:7], 3, v[2:3]
	global_load_b64 v[6:7], v[4:5], off offset:-8
	global_load_b64 v[10:11], v[2:3], off
	s_wait_loadcnt 0x2
	s_wait_xcnt 0x1
	v_mul_f64_e32 v[4:5], s[22:23], v[8:9]
	s_wait_loadcnt 0x0
	s_delay_alu instid0(VALU_DEP_1)
	v_fmac_f64_e32 v[10:11], v[4:5], v[6:7]
	global_store_b64 v[2:3], v[10:11], off
	s_branch .LBB14_2
.LBB14_7:
	s_endpgm
	.section	.rodata,"a",@progbits
	.p2align	6, 0x0
	.amdhsa_kernel _ZL23rocblas_syr_kernel_inc1ILb0ELi1024EddPKdPdEvimT2_lT3_llT4_llli
		.amdhsa_group_segment_fixed_size 0
		.amdhsa_private_segment_fixed_size 0
		.amdhsa_kernarg_size 352
		.amdhsa_user_sgpr_count 2
		.amdhsa_user_sgpr_dispatch_ptr 0
		.amdhsa_user_sgpr_queue_ptr 0
		.amdhsa_user_sgpr_kernarg_segment_ptr 1
		.amdhsa_user_sgpr_dispatch_id 0
		.amdhsa_user_sgpr_kernarg_preload_length 0
		.amdhsa_user_sgpr_kernarg_preload_offset 0
		.amdhsa_user_sgpr_private_segment_size 0
		.amdhsa_wavefront_size32 1
		.amdhsa_uses_dynamic_stack 0
		.amdhsa_enable_private_segment 0
		.amdhsa_system_sgpr_workgroup_id_x 1
		.amdhsa_system_sgpr_workgroup_id_y 0
		.amdhsa_system_sgpr_workgroup_id_z 1
		.amdhsa_system_sgpr_workgroup_info 0
		.amdhsa_system_vgpr_workitem_id 0
		.amdhsa_next_free_vgpr 12
		.amdhsa_next_free_sgpr 30
		.amdhsa_named_barrier_count 0
		.amdhsa_reserve_vcc 1
		.amdhsa_float_round_mode_32 0
		.amdhsa_float_round_mode_16_64 0
		.amdhsa_float_denorm_mode_32 3
		.amdhsa_float_denorm_mode_16_64 3
		.amdhsa_fp16_overflow 0
		.amdhsa_memory_ordered 1
		.amdhsa_forward_progress 1
		.amdhsa_inst_pref_size 6
		.amdhsa_round_robin_scheduling 0
		.amdhsa_exception_fp_ieee_invalid_op 0
		.amdhsa_exception_fp_denorm_src 0
		.amdhsa_exception_fp_ieee_div_zero 0
		.amdhsa_exception_fp_ieee_overflow 0
		.amdhsa_exception_fp_ieee_underflow 0
		.amdhsa_exception_fp_ieee_inexact 0
		.amdhsa_exception_int_div_zero 0
	.end_amdhsa_kernel
	.section	.text._ZL23rocblas_syr_kernel_inc1ILb0ELi1024EddPKdPdEvimT2_lT3_llT4_llli,"axG",@progbits,_ZL23rocblas_syr_kernel_inc1ILb0ELi1024EddPKdPdEvimT2_lT3_llT4_llli,comdat
.Lfunc_end14:
	.size	_ZL23rocblas_syr_kernel_inc1ILb0ELi1024EddPKdPdEvimT2_lT3_llT4_llli, .Lfunc_end14-_ZL23rocblas_syr_kernel_inc1ILb0ELi1024EddPKdPdEvimT2_lT3_llT4_llli
                                        ; -- End function
	.set _ZL23rocblas_syr_kernel_inc1ILb0ELi1024EddPKdPdEvimT2_lT3_llT4_llli.num_vgpr, 12
	.set _ZL23rocblas_syr_kernel_inc1ILb0ELi1024EddPKdPdEvimT2_lT3_llT4_llli.num_agpr, 0
	.set _ZL23rocblas_syr_kernel_inc1ILb0ELi1024EddPKdPdEvimT2_lT3_llT4_llli.numbered_sgpr, 30
	.set _ZL23rocblas_syr_kernel_inc1ILb0ELi1024EddPKdPdEvimT2_lT3_llT4_llli.num_named_barrier, 0
	.set _ZL23rocblas_syr_kernel_inc1ILb0ELi1024EddPKdPdEvimT2_lT3_llT4_llli.private_seg_size, 0
	.set _ZL23rocblas_syr_kernel_inc1ILb0ELi1024EddPKdPdEvimT2_lT3_llT4_llli.uses_vcc, 1
	.set _ZL23rocblas_syr_kernel_inc1ILb0ELi1024EddPKdPdEvimT2_lT3_llT4_llli.uses_flat_scratch, 0
	.set _ZL23rocblas_syr_kernel_inc1ILb0ELi1024EddPKdPdEvimT2_lT3_llT4_llli.has_dyn_sized_stack, 0
	.set _ZL23rocblas_syr_kernel_inc1ILb0ELi1024EddPKdPdEvimT2_lT3_llT4_llli.has_recursion, 0
	.set _ZL23rocblas_syr_kernel_inc1ILb0ELi1024EddPKdPdEvimT2_lT3_llT4_llli.has_indirect_call, 0
	.section	.AMDGPU.csdata,"",@progbits
; Kernel info:
; codeLenInByte = 692
; TotalNumSgprs: 32
; NumVgprs: 12
; ScratchSize: 0
; MemoryBound: 0
; FloatMode: 240
; IeeeMode: 1
; LDSByteSize: 0 bytes/workgroup (compile time only)
; SGPRBlocks: 0
; VGPRBlocks: 0
; NumSGPRsForWavesPerEU: 32
; NumVGPRsForWavesPerEU: 12
; NamedBarCnt: 0
; Occupancy: 16
; WaveLimiterHint : 0
; COMPUTE_PGM_RSRC2:SCRATCH_EN: 0
; COMPUTE_PGM_RSRC2:USER_SGPR: 2
; COMPUTE_PGM_RSRC2:TRAP_HANDLER: 0
; COMPUTE_PGM_RSRC2:TGID_X_EN: 1
; COMPUTE_PGM_RSRC2:TGID_Y_EN: 0
; COMPUTE_PGM_RSRC2:TGID_Z_EN: 1
; COMPUTE_PGM_RSRC2:TIDIG_COMP_CNT: 0
	.section	.text._ZL18rocblas_syr_kernelILb0ELi1024EddPKdPdEvimT2_lT3_lllT4_llli,"axG",@progbits,_ZL18rocblas_syr_kernelILb0ELi1024EddPKdPdEvimT2_lT3_lllT4_llli,comdat
	.globl	_ZL18rocblas_syr_kernelILb0ELi1024EddPKdPdEvimT2_lT3_lllT4_llli ; -- Begin function _ZL18rocblas_syr_kernelILb0ELi1024EddPKdPdEvimT2_lT3_lllT4_llli
	.p2align	8
	.type	_ZL18rocblas_syr_kernelILb0ELi1024EddPKdPdEvimT2_lT3_lllT4_llli,@function
_ZL18rocblas_syr_kernelILb0ELi1024EddPKdPdEvimT2_lT3_lllT4_llli: ; @_ZL18rocblas_syr_kernelILb0ELi1024EddPKdPdEvimT2_lT3_lllT4_llli
; %bb.0:
	s_load_b32 s24, s[0:1], 0x60
	s_bfe_u32 s2, ttmp6, 0x40014
	s_lshr_b32 s3, ttmp7, 16
	s_add_co_i32 s2, s2, 1
	s_bfe_u32 s4, ttmp6, 0x40008
	s_mul_i32 s2, s3, s2
	s_getreg_b32 s25, hwreg(HW_REG_IB_STS2, 6, 4)
	s_add_co_i32 s4, s4, s2
	s_cmp_eq_u32 s25, 0
	s_cselect_b32 s2, s3, s4
	s_mov_b32 s3, 0
	s_wait_kmcnt 0x0
	s_cmp_ge_u32 s2, s24
	s_cbranch_scc1 .LBB15_7
; %bb.1:
	s_clause 0x2
	s_load_b512 s[4:19], s[0:1], 0x20
	s_load_b128 s[20:23], s[0:1], 0x8
	s_load_b32 s30, s[0:1], 0x0
	s_bfe_u32 s26, ttmp6, 0x4000c
	s_and_b32 s27, ttmp6, 15
	s_add_co_i32 s26, s26, 1
	v_mov_b32_e32 v1, 0
	s_mul_i32 s26, ttmp9, s26
	s_wait_xcnt 0x0
	s_add_nc_u64 s[0:1], s[0:1], 0x68
	s_add_co_i32 s31, s27, s26
	s_wait_kmcnt 0x0
	s_lshl_b64 s[26:27], s[14:15], 3
	v_cmp_neq_f64_e64 s14, s[22:23], 0
	s_lshl_b64 s[28:29], s[6:7], 3
	s_cmp_eq_u32 s25, 0
	s_add_nc_u64 s[6:7], s[12:13], s[26:27]
	s_add_nc_u64 s[4:5], s[4:5], s[28:29]
	s_cselect_b32 s12, ttmp9, s31
	s_add_co_i32 s13, s30, -1
	s_branch .LBB15_4
.LBB15_2:                               ;   in Loop: Header=BB15_4 Depth=1
	s_wait_xcnt 0x0
	s_or_b32 exec_lo, exec_lo, s15
.LBB15_3:                               ;   in Loop: Header=BB15_4 Depth=1
	s_add_co_i32 s2, s2, 0x10000
	s_delay_alu instid0(SALU_CYCLE_1)
	s_cmp_lt_u32 s2, s24
	s_cbranch_scc0 .LBB15_7
.LBB15_4:                               ; =>This Inner Loop Header: Depth=1
	s_and_not1_b32 vcc_lo, exec_lo, s14
	s_cbranch_vccnz .LBB15_3
; %bb.5:                                ;   in Loop: Header=BB15_4 Depth=1
	s_load_b32 s15, s[0:1], 0xc
	s_wait_kmcnt 0x0
	s_and_b32 s15, s15, 0xffff
	s_delay_alu instid0(SALU_CYCLE_1) | instskip(SKIP_1) | instid1(VALU_DEP_1)
	v_mad_nc_u64_u32 v[2:3], s15, s12, v[0:1]
	s_mov_b32 s15, exec_lo
	v_cmpx_gt_u64_e64 s[20:21], v[2:3]
	s_cbranch_execz .LBB15_2
; %bb.6:                                ;   in Loop: Header=BB15_4 Depth=1
	v_not_b32_e32 v3, v3
	v_not_b32_e32 v2, v2
	s_mul_u64 s[26:27], s[10:11], s[2:3]
	s_mul_u64 s[28:29], s[18:19], s[2:3]
	s_lshl_b64 s[26:27], s[26:27], 3
	s_lshl_b64 s[28:29], s[28:29], 3
	v_add_nc_u64_e32 v[2:3], s[20:21], v[2:3]
	s_add_nc_u64 s[26:27], s[4:5], s[26:27]
	s_add_nc_u64 s[28:29], s[6:7], s[28:29]
	s_delay_alu instid0(VALU_DEP_1) | instskip(SKIP_1) | instid1(VALU_DEP_2)
	v_lshlrev_b64_e32 v[4:5], 3, v[2:3]
	v_sub_nc_u32_e32 v2, s13, v2
	v_cvt_f64_u32_e32 v[6:7], v5
	s_delay_alu instid0(VALU_DEP_3) | instskip(NEXT) | instid1(VALU_DEP_1)
	v_or_b32_e32 v3, 1, v4
	v_cvt_f64_u32_e32 v[4:5], v3
	s_delay_alu instid0(VALU_DEP_3) | instskip(NEXT) | instid1(VALU_DEP_1)
	v_ldexp_f64 v[6:7], v[6:7], 32
	v_add_f64_e32 v[4:5], v[6:7], v[4:5]
	s_delay_alu instid0(VALU_DEP_1) | instskip(SKIP_1) | instid1(VALU_DEP_1)
	v_cmp_gt_f64_e32 vcc_lo, 0x10000000, v[4:5]
	v_cndmask_b32_e64 v3, 0, 0x100, vcc_lo
	v_ldexp_f64 v[4:5], v[4:5], v3
	v_cndmask_b32_e64 v3, 0, 0xffffff80, vcc_lo
	s_delay_alu instid0(VALU_DEP_2) | instskip(SKIP_1) | instid1(TRANS32_DEP_1)
	v_rsq_f64_e32 v[6:7], v[4:5]
	v_cmp_class_f64_e64 vcc_lo, v[4:5], 0x260
	v_mul_f64_e32 v[8:9], v[4:5], v[6:7]
	v_mul_f64_e32 v[6:7], 0.5, v[6:7]
	s_delay_alu instid0(VALU_DEP_1) | instskip(NEXT) | instid1(VALU_DEP_1)
	v_fma_f64 v[10:11], -v[6:7], v[8:9], 0.5
	v_fmac_f64_e32 v[8:9], v[8:9], v[10:11]
	v_fmac_f64_e32 v[6:7], v[6:7], v[10:11]
	s_delay_alu instid0(VALU_DEP_2) | instskip(NEXT) | instid1(VALU_DEP_1)
	v_fma_f64 v[10:11], -v[8:9], v[8:9], v[4:5]
	v_fmac_f64_e32 v[8:9], v[10:11], v[6:7]
	s_delay_alu instid0(VALU_DEP_1) | instskip(NEXT) | instid1(VALU_DEP_1)
	v_fma_f64 v[10:11], -v[8:9], v[8:9], v[4:5]
	v_fmac_f64_e32 v[8:9], v[10:11], v[6:7]
	s_delay_alu instid0(VALU_DEP_1) | instskip(NEXT) | instid1(VALU_DEP_1)
	v_ldexp_f64 v[6:7], v[8:9], v3
	v_dual_cndmask_b32 v5, v7, v5 :: v_dual_cndmask_b32 v4, v6, v4
	s_delay_alu instid0(VALU_DEP_1) | instskip(NEXT) | instid1(VALU_DEP_1)
	v_add_f64_e32 v[4:5], -1.0, v[4:5]
	v_mul_f64_e32 v[4:5], 0.5, v[4:5]
	s_delay_alu instid0(VALU_DEP_1) | instskip(NEXT) | instid1(VALU_DEP_1)
	v_cvt_i32_f64_e32 v6, v[4:5]
	v_mad_u32 v3, v6, v6, v6
	s_delay_alu instid0(VALU_DEP_1) | instskip(NEXT) | instid1(VALU_DEP_1)
	v_lshrrev_b32_e32 v4, 31, v3
	v_add_nc_u32_e32 v3, v3, v4
	s_delay_alu instid0(VALU_DEP_1) | instskip(NEXT) | instid1(VALU_DEP_1)
	v_ashrrev_i32_e32 v3, 1, v3
	v_add_nc_u32_e32 v2, v2, v3
	s_delay_alu instid0(VALU_DEP_1) | instskip(NEXT) | instid1(VALU_DEP_1)
	v_ashrrev_i32_e32 v3, 31, v2
	v_mul_u64_e32 v[4:5], s[8:9], v[2:3]
	s_delay_alu instid0(VALU_DEP_1) | instskip(SKIP_4) | instid1(VALU_DEP_1)
	v_lshl_add_u64 v[4:5], v[4:5], 3, s[26:27]
	global_load_b64 v[4:5], v[4:5], off
	s_wait_loadcnt 0x0
	s_wait_xcnt 0x0
	v_dual_mul_f64 v[4:5], s[22:23], v[4:5] :: v_dual_sub_nc_u32 v6, s13, v6
	v_ashrrev_i32_e32 v7, 31, v6
	s_delay_alu instid0(VALU_DEP_1) | instskip(SKIP_1) | instid1(VALU_DEP_2)
	v_mul_u64_e32 v[8:9], s[16:17], v[6:7]
	v_mul_u64_e32 v[6:7], s[8:9], v[6:7]
	v_lshl_add_u64 v[8:9], v[8:9], 3, s[28:29]
	s_delay_alu instid0(VALU_DEP_2) | instskip(NEXT) | instid1(VALU_DEP_2)
	v_lshl_add_u64 v[6:7], v[6:7], 3, s[26:27]
	v_lshl_add_u64 v[2:3], v[2:3], 3, v[8:9]
	global_load_b64 v[8:9], v[6:7], off
	global_load_b64 v[10:11], v[2:3], off
	s_wait_loadcnt 0x0
	v_fmac_f64_e32 v[10:11], v[4:5], v[8:9]
	global_store_b64 v[2:3], v[10:11], off
	s_branch .LBB15_2
.LBB15_7:
	s_endpgm
	.section	.rodata,"a",@progbits
	.p2align	6, 0x0
	.amdhsa_kernel _ZL18rocblas_syr_kernelILb0ELi1024EddPKdPdEvimT2_lT3_lllT4_llli
		.amdhsa_group_segment_fixed_size 0
		.amdhsa_private_segment_fixed_size 0
		.amdhsa_kernarg_size 360
		.amdhsa_user_sgpr_count 2
		.amdhsa_user_sgpr_dispatch_ptr 0
		.amdhsa_user_sgpr_queue_ptr 0
		.amdhsa_user_sgpr_kernarg_segment_ptr 1
		.amdhsa_user_sgpr_dispatch_id 0
		.amdhsa_user_sgpr_kernarg_preload_length 0
		.amdhsa_user_sgpr_kernarg_preload_offset 0
		.amdhsa_user_sgpr_private_segment_size 0
		.amdhsa_wavefront_size32 1
		.amdhsa_uses_dynamic_stack 0
		.amdhsa_enable_private_segment 0
		.amdhsa_system_sgpr_workgroup_id_x 1
		.amdhsa_system_sgpr_workgroup_id_y 0
		.amdhsa_system_sgpr_workgroup_id_z 1
		.amdhsa_system_sgpr_workgroup_info 0
		.amdhsa_system_vgpr_workitem_id 0
		.amdhsa_next_free_vgpr 12
		.amdhsa_next_free_sgpr 32
		.amdhsa_named_barrier_count 0
		.amdhsa_reserve_vcc 1
		.amdhsa_float_round_mode_32 0
		.amdhsa_float_round_mode_16_64 0
		.amdhsa_float_denorm_mode_32 3
		.amdhsa_float_denorm_mode_16_64 3
		.amdhsa_fp16_overflow 0
		.amdhsa_memory_ordered 1
		.amdhsa_forward_progress 1
		.amdhsa_inst_pref_size 6
		.amdhsa_round_robin_scheduling 0
		.amdhsa_exception_fp_ieee_invalid_op 0
		.amdhsa_exception_fp_denorm_src 0
		.amdhsa_exception_fp_ieee_div_zero 0
		.amdhsa_exception_fp_ieee_overflow 0
		.amdhsa_exception_fp_ieee_underflow 0
		.amdhsa_exception_fp_ieee_inexact 0
		.amdhsa_exception_int_div_zero 0
	.end_amdhsa_kernel
	.section	.text._ZL18rocblas_syr_kernelILb0ELi1024EddPKdPdEvimT2_lT3_lllT4_llli,"axG",@progbits,_ZL18rocblas_syr_kernelILb0ELi1024EddPKdPdEvimT2_lT3_lllT4_llli,comdat
.Lfunc_end15:
	.size	_ZL18rocblas_syr_kernelILb0ELi1024EddPKdPdEvimT2_lT3_lllT4_llli, .Lfunc_end15-_ZL18rocblas_syr_kernelILb0ELi1024EddPKdPdEvimT2_lT3_lllT4_llli
                                        ; -- End function
	.set _ZL18rocblas_syr_kernelILb0ELi1024EddPKdPdEvimT2_lT3_lllT4_llli.num_vgpr, 12
	.set _ZL18rocblas_syr_kernelILb0ELi1024EddPKdPdEvimT2_lT3_lllT4_llli.num_agpr, 0
	.set _ZL18rocblas_syr_kernelILb0ELi1024EddPKdPdEvimT2_lT3_lllT4_llli.numbered_sgpr, 32
	.set _ZL18rocblas_syr_kernelILb0ELi1024EddPKdPdEvimT2_lT3_lllT4_llli.num_named_barrier, 0
	.set _ZL18rocblas_syr_kernelILb0ELi1024EddPKdPdEvimT2_lT3_lllT4_llli.private_seg_size, 0
	.set _ZL18rocblas_syr_kernelILb0ELi1024EddPKdPdEvimT2_lT3_lllT4_llli.uses_vcc, 1
	.set _ZL18rocblas_syr_kernelILb0ELi1024EddPKdPdEvimT2_lT3_lllT4_llli.uses_flat_scratch, 0
	.set _ZL18rocblas_syr_kernelILb0ELi1024EddPKdPdEvimT2_lT3_lllT4_llli.has_dyn_sized_stack, 0
	.set _ZL18rocblas_syr_kernelILb0ELi1024EddPKdPdEvimT2_lT3_lllT4_llli.has_recursion, 0
	.set _ZL18rocblas_syr_kernelILb0ELi1024EddPKdPdEvimT2_lT3_lllT4_llli.has_indirect_call, 0
	.section	.AMDGPU.csdata,"",@progbits
; Kernel info:
; codeLenInByte = 692
; TotalNumSgprs: 34
; NumVgprs: 12
; ScratchSize: 0
; MemoryBound: 0
; FloatMode: 240
; IeeeMode: 1
; LDSByteSize: 0 bytes/workgroup (compile time only)
; SGPRBlocks: 0
; VGPRBlocks: 0
; NumSGPRsForWavesPerEU: 34
; NumVGPRsForWavesPerEU: 12
; NamedBarCnt: 0
; Occupancy: 16
; WaveLimiterHint : 0
; COMPUTE_PGM_RSRC2:SCRATCH_EN: 0
; COMPUTE_PGM_RSRC2:USER_SGPR: 2
; COMPUTE_PGM_RSRC2:TRAP_HANDLER: 0
; COMPUTE_PGM_RSRC2:TGID_X_EN: 1
; COMPUTE_PGM_RSRC2:TGID_Y_EN: 0
; COMPUTE_PGM_RSRC2:TGID_Z_EN: 1
; COMPUTE_PGM_RSRC2:TIDIG_COMP_CNT: 0
	.section	.text._ZL23rocblas_syr_kernel_inc1ILb1ELi1024E19rocblas_complex_numIfEPKS1_S3_PS1_EvimT2_lT3_llT4_llli,"axG",@progbits,_ZL23rocblas_syr_kernel_inc1ILb1ELi1024E19rocblas_complex_numIfEPKS1_S3_PS1_EvimT2_lT3_llT4_llli,comdat
	.globl	_ZL23rocblas_syr_kernel_inc1ILb1ELi1024E19rocblas_complex_numIfEPKS1_S3_PS1_EvimT2_lT3_llT4_llli ; -- Begin function _ZL23rocblas_syr_kernel_inc1ILb1ELi1024E19rocblas_complex_numIfEPKS1_S3_PS1_EvimT2_lT3_llT4_llli
	.p2align	8
	.type	_ZL23rocblas_syr_kernel_inc1ILb1ELi1024E19rocblas_complex_numIfEPKS1_S3_PS1_EvimT2_lT3_llT4_llli,@function
_ZL23rocblas_syr_kernel_inc1ILb1ELi1024E19rocblas_complex_numIfEPKS1_S3_PS1_EvimT2_lT3_llT4_llli: ; @_ZL23rocblas_syr_kernel_inc1ILb1ELi1024E19rocblas_complex_numIfEPKS1_S3_PS1_EvimT2_lT3_llT4_llli
; %bb.0:
	s_load_b32 s24, s[0:1], 0x58
	s_bfe_u32 s2, ttmp6, 0x40014
	s_lshr_b32 s3, ttmp7, 16
	s_add_co_i32 s2, s2, 1
	s_bfe_u32 s4, ttmp6, 0x40008
	s_mul_i32 s2, s3, s2
	s_getreg_b32 s25, hwreg(HW_REG_IB_STS2, 6, 4)
	s_add_co_i32 s4, s4, s2
	s_cmp_eq_u32 s25, 0
	s_cselect_b32 s2, s3, s4
	s_mov_b32 s3, 0
	s_wait_kmcnt 0x0
	s_cmp_ge_u32 s2, s24
	s_cbranch_scc1 .LBB16_7
; %bb.1:
	s_clause 0x1
	s_load_b512 s[4:19], s[0:1], 0x8
	s_load_b128 s[20:23], s[0:1], 0x48
	s_bfe_u32 s26, ttmp6, 0x4000c
	s_and_b32 s27, ttmp6, 15
	s_add_co_i32 s26, s26, 1
	v_mov_b32_e32 v1, 0
	s_mul_i32 s26, ttmp9, s26
	s_wait_xcnt 0x0
	s_add_nc_u64 s[0:1], s[0:1], 0x60
	s_add_co_i32 s28, s27, s26
	s_wait_kmcnt 0x0
	s_lshl_b64 s[18:19], s[18:19], 3
	s_lshl_b64 s[26:27], s[12:13], 3
	s_cmp_eq_u32 s25, 0
	s_add_nc_u64 s[12:13], s[16:17], s[18:19]
	s_add_nc_u64 s[10:11], s[10:11], s[26:27]
	s_cselect_b32 s16, ttmp9, s28
	s_branch .LBB16_4
.LBB16_2:                               ;   in Loop: Header=BB16_4 Depth=1
	s_wait_xcnt 0x0
	s_or_b32 exec_lo, exec_lo, s17
.LBB16_3:                               ;   in Loop: Header=BB16_4 Depth=1
	s_add_co_i32 s2, s2, 0x10000
	s_delay_alu instid0(SALU_CYCLE_1)
	s_cmp_lt_u32 s2, s24
	s_cbranch_scc0 .LBB16_7
.LBB16_4:                               ; =>This Inner Loop Header: Depth=1
	s_wait_xcnt 0x0
	s_mul_u64 s[18:19], s[8:9], s[2:3]
	s_delay_alu instid0(SALU_CYCLE_1) | instskip(NEXT) | instid1(SALU_CYCLE_1)
	s_lshl_b64 s[18:19], s[18:19], 3
	s_add_nc_u64 s[18:19], s[6:7], s[18:19]
	global_load_b64 v[2:3], v1, s[18:19]
	s_wait_loadcnt 0x0
	v_or_b32_e32 v4, v2, v3
	s_delay_alu instid0(VALU_DEP_1) | instskip(NEXT) | instid1(VALU_DEP_1)
	v_and_b32_e32 v4, 0x7fffffff, v4
	v_cmp_eq_u32_e32 vcc_lo, 0, v4
	s_cbranch_vccnz .LBB16_3
; %bb.5:                                ;   in Loop: Header=BB16_4 Depth=1
	s_load_b32 s17, s[0:1], 0xc
	s_wait_kmcnt 0x0
	s_and_b32 s17, s17, 0xffff
	s_delay_alu instid0(SALU_CYCLE_1) | instskip(SKIP_1) | instid1(VALU_DEP_1)
	v_mad_nc_u64_u32 v[4:5], s17, s16, v[0:1]
	s_mov_b32 s17, exec_lo
	v_cmpx_gt_u64_e64 s[4:5], v[4:5]
	s_cbranch_execz .LBB16_2
; %bb.6:                                ;   in Loop: Header=BB16_4 Depth=1
	v_lshlrev_b64_e32 v[6:7], 3, v[4:5]
	s_mul_u64 s[18:19], s[14:15], s[2:3]
	s_mul_u64 s[26:27], s[22:23], s[2:3]
	s_lshl_b64 s[18:19], s[18:19], 3
	s_delay_alu instid0(SALU_CYCLE_1) | instskip(NEXT) | instid1(VALU_DEP_1)
	s_add_nc_u64 s[18:19], s[10:11], s[18:19]
	v_cvt_f64_u32_e32 v[8:9], v7
	s_delay_alu instid0(VALU_DEP_2) | instskip(NEXT) | instid1(VALU_DEP_1)
	v_or_b32_e32 v5, 1, v6
	v_cvt_f64_u32_e32 v[6:7], v5
	s_delay_alu instid0(VALU_DEP_3) | instskip(NEXT) | instid1(VALU_DEP_1)
	v_ldexp_f64 v[8:9], v[8:9], 32
	v_add_f64_e32 v[6:7], v[8:9], v[6:7]
	s_delay_alu instid0(VALU_DEP_1) | instskip(SKIP_1) | instid1(VALU_DEP_1)
	v_cmp_gt_f64_e32 vcc_lo, 0x10000000, v[6:7]
	v_cndmask_b32_e64 v5, 0, 0x100, vcc_lo
	v_ldexp_f64 v[6:7], v[6:7], v5
	v_cndmask_b32_e64 v5, 0, 0xffffff80, vcc_lo
	s_delay_alu instid0(VALU_DEP_2) | instskip(SKIP_1) | instid1(TRANS32_DEP_1)
	v_rsq_f64_e32 v[8:9], v[6:7]
	v_cmp_class_f64_e64 vcc_lo, v[6:7], 0x260
	v_mul_f64_e32 v[10:11], v[6:7], v[8:9]
	v_mul_f64_e32 v[8:9], 0.5, v[8:9]
	s_delay_alu instid0(VALU_DEP_1) | instskip(NEXT) | instid1(VALU_DEP_1)
	v_fma_f64 v[12:13], -v[8:9], v[10:11], 0.5
	v_fmac_f64_e32 v[10:11], v[10:11], v[12:13]
	v_fmac_f64_e32 v[8:9], v[8:9], v[12:13]
	s_delay_alu instid0(VALU_DEP_2) | instskip(NEXT) | instid1(VALU_DEP_1)
	v_fma_f64 v[12:13], -v[10:11], v[10:11], v[6:7]
	v_fmac_f64_e32 v[10:11], v[12:13], v[8:9]
	s_delay_alu instid0(VALU_DEP_1) | instskip(NEXT) | instid1(VALU_DEP_1)
	v_fma_f64 v[12:13], -v[10:11], v[10:11], v[6:7]
	v_fmac_f64_e32 v[10:11], v[12:13], v[8:9]
	s_delay_alu instid0(VALU_DEP_1) | instskip(NEXT) | instid1(VALU_DEP_1)
	v_ldexp_f64 v[8:9], v[10:11], v5
	v_dual_cndmask_b32 v7, v9, v7 :: v_dual_cndmask_b32 v6, v8, v6
	s_delay_alu instid0(VALU_DEP_1) | instskip(NEXT) | instid1(VALU_DEP_1)
	v_add_f64_e32 v[6:7], -1.0, v[6:7]
	v_mul_f64_e32 v[6:7], 0.5, v[6:7]
	s_delay_alu instid0(VALU_DEP_1) | instskip(NEXT) | instid1(VALU_DEP_1)
	v_cvt_i32_f64_e32 v6, v[6:7]
	v_mad_u32 v5, v6, v6, v6
	v_ashrrev_i32_e32 v7, 31, v6
	s_delay_alu instid0(VALU_DEP_1) | instskip(SKIP_2) | instid1(VALU_DEP_1)
	v_mul_u64_e32 v[8:9], s[20:21], v[6:7]
	global_load_b64 v[6:7], v6, s[18:19] scale_offset
	v_lshrrev_b32_e32 v10, 31, v5
	v_add_nc_u32_e32 v5, v5, v10
	s_delay_alu instid0(VALU_DEP_1) | instskip(NEXT) | instid1(VALU_DEP_1)
	v_ashrrev_i32_e32 v5, 1, v5
	v_sub_nc_u32_e32 v4, v4, v5
	global_load_b64 v[10:11], v4, s[18:19] scale_offset
	s_wait_xcnt 0x0
	s_lshl_b64 s[18:19], s[26:27], 3
	v_ashrrev_i32_e32 v5, 31, v4
	s_add_nc_u64 s[18:19], s[12:13], s[18:19]
	s_delay_alu instid0(SALU_CYCLE_1) | instskip(NEXT) | instid1(VALU_DEP_1)
	v_lshl_add_u64 v[8:9], v[8:9], 3, s[18:19]
	v_lshl_add_u64 v[4:5], v[4:5], 3, v[8:9]
	global_load_b64 v[8:9], v[4:5], off
	s_wait_loadcnt 0x1
	v_pk_mul_f32 v[12:13], v[10:11], v[2:3] op_sel:[0,1] op_sel_hi:[1,0]
	v_pk_mul_f32 v[2:3], v[10:11], v[2:3]
	s_delay_alu instid0(VALU_DEP_2) | instskip(NEXT) | instid1(VALU_DEP_2)
	v_add_f32_e32 v12, v12, v13
	v_pk_add_f32 v[2:3], v[2:3], v[2:3] op_sel:[0,1] op_sel_hi:[0,1] neg_lo:[0,1] neg_hi:[0,1]
	s_delay_alu instid0(VALU_DEP_2) | instskip(NEXT) | instid1(VALU_DEP_1)
	v_pk_mul_f32 v[10:11], v[6:7], v[12:13] op_sel:[1,0] op_sel_hi:[0,0]
	v_pk_fma_f32 v[12:13], v[6:7], v[2:3], v[10:11]
	v_pk_fma_f32 v[2:3], v[6:7], v[2:3], v[10:11] neg_lo:[0,0,1] neg_hi:[0,0,1]
	s_delay_alu instid0(VALU_DEP_2) | instskip(SKIP_1) | instid1(VALU_DEP_1)
	v_mov_b32_e32 v3, v13
	s_wait_loadcnt 0x0
	v_pk_add_f32 v[2:3], v[8:9], v[2:3]
	global_store_b64 v[4:5], v[2:3], off
	s_branch .LBB16_2
.LBB16_7:
	s_endpgm
	.section	.rodata,"a",@progbits
	.p2align	6, 0x0
	.amdhsa_kernel _ZL23rocblas_syr_kernel_inc1ILb1ELi1024E19rocblas_complex_numIfEPKS1_S3_PS1_EvimT2_lT3_llT4_llli
		.amdhsa_group_segment_fixed_size 0
		.amdhsa_private_segment_fixed_size 0
		.amdhsa_kernarg_size 352
		.amdhsa_user_sgpr_count 2
		.amdhsa_user_sgpr_dispatch_ptr 0
		.amdhsa_user_sgpr_queue_ptr 0
		.amdhsa_user_sgpr_kernarg_segment_ptr 1
		.amdhsa_user_sgpr_dispatch_id 0
		.amdhsa_user_sgpr_kernarg_preload_length 0
		.amdhsa_user_sgpr_kernarg_preload_offset 0
		.amdhsa_user_sgpr_private_segment_size 0
		.amdhsa_wavefront_size32 1
		.amdhsa_uses_dynamic_stack 0
		.amdhsa_enable_private_segment 0
		.amdhsa_system_sgpr_workgroup_id_x 1
		.amdhsa_system_sgpr_workgroup_id_y 0
		.amdhsa_system_sgpr_workgroup_id_z 1
		.amdhsa_system_sgpr_workgroup_info 0
		.amdhsa_system_vgpr_workitem_id 0
		.amdhsa_next_free_vgpr 14
		.amdhsa_next_free_sgpr 29
		.amdhsa_named_barrier_count 0
		.amdhsa_reserve_vcc 1
		.amdhsa_float_round_mode_32 0
		.amdhsa_float_round_mode_16_64 0
		.amdhsa_float_denorm_mode_32 3
		.amdhsa_float_denorm_mode_16_64 3
		.amdhsa_fp16_overflow 0
		.amdhsa_memory_ordered 1
		.amdhsa_forward_progress 1
		.amdhsa_inst_pref_size 6
		.amdhsa_round_robin_scheduling 0
		.amdhsa_exception_fp_ieee_invalid_op 0
		.amdhsa_exception_fp_denorm_src 0
		.amdhsa_exception_fp_ieee_div_zero 0
		.amdhsa_exception_fp_ieee_overflow 0
		.amdhsa_exception_fp_ieee_underflow 0
		.amdhsa_exception_fp_ieee_inexact 0
		.amdhsa_exception_int_div_zero 0
	.end_amdhsa_kernel
	.section	.text._ZL23rocblas_syr_kernel_inc1ILb1ELi1024E19rocblas_complex_numIfEPKS1_S3_PS1_EvimT2_lT3_llT4_llli,"axG",@progbits,_ZL23rocblas_syr_kernel_inc1ILb1ELi1024E19rocblas_complex_numIfEPKS1_S3_PS1_EvimT2_lT3_llT4_llli,comdat
.Lfunc_end16:
	.size	_ZL23rocblas_syr_kernel_inc1ILb1ELi1024E19rocblas_complex_numIfEPKS1_S3_PS1_EvimT2_lT3_llT4_llli, .Lfunc_end16-_ZL23rocblas_syr_kernel_inc1ILb1ELi1024E19rocblas_complex_numIfEPKS1_S3_PS1_EvimT2_lT3_llT4_llli
                                        ; -- End function
	.set _ZL23rocblas_syr_kernel_inc1ILb1ELi1024E19rocblas_complex_numIfEPKS1_S3_PS1_EvimT2_lT3_llT4_llli.num_vgpr, 14
	.set _ZL23rocblas_syr_kernel_inc1ILb1ELi1024E19rocblas_complex_numIfEPKS1_S3_PS1_EvimT2_lT3_llT4_llli.num_agpr, 0
	.set _ZL23rocblas_syr_kernel_inc1ILb1ELi1024E19rocblas_complex_numIfEPKS1_S3_PS1_EvimT2_lT3_llT4_llli.numbered_sgpr, 29
	.set _ZL23rocblas_syr_kernel_inc1ILb1ELi1024E19rocblas_complex_numIfEPKS1_S3_PS1_EvimT2_lT3_llT4_llli.num_named_barrier, 0
	.set _ZL23rocblas_syr_kernel_inc1ILb1ELi1024E19rocblas_complex_numIfEPKS1_S3_PS1_EvimT2_lT3_llT4_llli.private_seg_size, 0
	.set _ZL23rocblas_syr_kernel_inc1ILb1ELi1024E19rocblas_complex_numIfEPKS1_S3_PS1_EvimT2_lT3_llT4_llli.uses_vcc, 1
	.set _ZL23rocblas_syr_kernel_inc1ILb1ELi1024E19rocblas_complex_numIfEPKS1_S3_PS1_EvimT2_lT3_llT4_llli.uses_flat_scratch, 0
	.set _ZL23rocblas_syr_kernel_inc1ILb1ELi1024E19rocblas_complex_numIfEPKS1_S3_PS1_EvimT2_lT3_llT4_llli.has_dyn_sized_stack, 0
	.set _ZL23rocblas_syr_kernel_inc1ILb1ELi1024E19rocblas_complex_numIfEPKS1_S3_PS1_EvimT2_lT3_llT4_llli.has_recursion, 0
	.set _ZL23rocblas_syr_kernel_inc1ILb1ELi1024E19rocblas_complex_numIfEPKS1_S3_PS1_EvimT2_lT3_llT4_llli.has_indirect_call, 0
	.section	.AMDGPU.csdata,"",@progbits
; Kernel info:
; codeLenInByte = 732
; TotalNumSgprs: 31
; NumVgprs: 14
; ScratchSize: 0
; MemoryBound: 0
; FloatMode: 240
; IeeeMode: 1
; LDSByteSize: 0 bytes/workgroup (compile time only)
; SGPRBlocks: 0
; VGPRBlocks: 0
; NumSGPRsForWavesPerEU: 31
; NumVGPRsForWavesPerEU: 14
; NamedBarCnt: 0
; Occupancy: 16
; WaveLimiterHint : 0
; COMPUTE_PGM_RSRC2:SCRATCH_EN: 0
; COMPUTE_PGM_RSRC2:USER_SGPR: 2
; COMPUTE_PGM_RSRC2:TRAP_HANDLER: 0
; COMPUTE_PGM_RSRC2:TGID_X_EN: 1
; COMPUTE_PGM_RSRC2:TGID_Y_EN: 0
; COMPUTE_PGM_RSRC2:TGID_Z_EN: 1
; COMPUTE_PGM_RSRC2:TIDIG_COMP_CNT: 0
	.section	.text._ZL18rocblas_syr_kernelILb1ELi1024E19rocblas_complex_numIfEPKS1_S3_PS1_EvimT2_lT3_lllT4_llli,"axG",@progbits,_ZL18rocblas_syr_kernelILb1ELi1024E19rocblas_complex_numIfEPKS1_S3_PS1_EvimT2_lT3_lllT4_llli,comdat
	.globl	_ZL18rocblas_syr_kernelILb1ELi1024E19rocblas_complex_numIfEPKS1_S3_PS1_EvimT2_lT3_lllT4_llli ; -- Begin function _ZL18rocblas_syr_kernelILb1ELi1024E19rocblas_complex_numIfEPKS1_S3_PS1_EvimT2_lT3_lllT4_llli
	.p2align	8
	.type	_ZL18rocblas_syr_kernelILb1ELi1024E19rocblas_complex_numIfEPKS1_S3_PS1_EvimT2_lT3_lllT4_llli,@function
_ZL18rocblas_syr_kernelILb1ELi1024E19rocblas_complex_numIfEPKS1_S3_PS1_EvimT2_lT3_lllT4_llli: ; @_ZL18rocblas_syr_kernelILb1ELi1024E19rocblas_complex_numIfEPKS1_S3_PS1_EvimT2_lT3_lllT4_llli
; %bb.0:
	s_load_b32 s26, s[0:1], 0x60
	s_bfe_u32 s2, ttmp6, 0x40014
	s_lshr_b32 s3, ttmp7, 16
	s_add_co_i32 s2, s2, 1
	s_bfe_u32 s4, ttmp6, 0x40008
	s_mul_i32 s2, s3, s2
	s_getreg_b32 s27, hwreg(HW_REG_IB_STS2, 6, 4)
	s_add_co_i32 s4, s4, s2
	s_cmp_eq_u32 s27, 0
	s_cselect_b32 s2, s3, s4
	s_mov_b32 s3, 0
	s_wait_kmcnt 0x0
	s_cmp_ge_u32 s2, s26
	s_cbranch_scc1 .LBB17_7
; %bb.1:
	s_clause 0x2
	s_load_b128 s[20:23], s[0:1], 0x48
	s_load_b512 s[4:19], s[0:1], 0x8
	s_load_b64 s[24:25], s[0:1], 0x58
	s_bfe_u32 s28, ttmp6, 0x4000c
	s_and_b32 s29, ttmp6, 15
	s_add_co_i32 s28, s28, 1
	v_mov_b32_e32 v1, 0
	s_mul_i32 s28, ttmp9, s28
	s_wait_xcnt 0x0
	s_add_nc_u64 s[0:1], s[0:1], 0x68
	s_add_co_i32 s30, s29, s28
	s_wait_kmcnt 0x0
	s_lshl_b64 s[20:21], s[20:21], 3
	s_lshl_b64 s[28:29], s[12:13], 3
	s_cmp_eq_u32 s27, 0
	s_add_nc_u64 s[12:13], s[18:19], s[20:21]
	s_add_nc_u64 s[10:11], s[10:11], s[28:29]
	s_cselect_b32 s18, ttmp9, s30
	s_branch .LBB17_4
.LBB17_2:                               ;   in Loop: Header=BB17_4 Depth=1
	s_wait_xcnt 0x0
	s_or_b32 exec_lo, exec_lo, s19
.LBB17_3:                               ;   in Loop: Header=BB17_4 Depth=1
	s_add_co_i32 s2, s2, 0x10000
	s_delay_alu instid0(SALU_CYCLE_1)
	s_cmp_lt_u32 s2, s26
	s_cbranch_scc0 .LBB17_7
.LBB17_4:                               ; =>This Inner Loop Header: Depth=1
	s_wait_xcnt 0x0
	s_mul_u64 s[20:21], s[8:9], s[2:3]
	s_delay_alu instid0(SALU_CYCLE_1) | instskip(NEXT) | instid1(SALU_CYCLE_1)
	s_lshl_b64 s[20:21], s[20:21], 3
	s_add_nc_u64 s[20:21], s[6:7], s[20:21]
	global_load_b64 v[2:3], v1, s[20:21]
	s_wait_loadcnt 0x0
	v_or_b32_e32 v4, v2, v3
	s_delay_alu instid0(VALU_DEP_1) | instskip(NEXT) | instid1(VALU_DEP_1)
	v_and_b32_e32 v4, 0x7fffffff, v4
	v_cmp_eq_u32_e32 vcc_lo, 0, v4
	s_cbranch_vccnz .LBB17_3
; %bb.5:                                ;   in Loop: Header=BB17_4 Depth=1
	s_load_b32 s19, s[0:1], 0xc
	s_wait_kmcnt 0x0
	s_and_b32 s19, s19, 0xffff
	s_delay_alu instid0(SALU_CYCLE_1) | instskip(SKIP_1) | instid1(VALU_DEP_1)
	v_mad_nc_u64_u32 v[4:5], s19, s18, v[0:1]
	s_mov_b32 s19, exec_lo
	v_cmpx_gt_u64_e64 s[4:5], v[4:5]
	s_cbranch_execz .LBB17_2
; %bb.6:                                ;   in Loop: Header=BB17_4 Depth=1
	v_lshlrev_b64_e32 v[6:7], 3, v[4:5]
	s_mul_u64 s[20:21], s[16:17], s[2:3]
	s_delay_alu instid0(SALU_CYCLE_1) | instskip(NEXT) | instid1(SALU_CYCLE_1)
	s_lshl_b64 s[20:21], s[20:21], 3
	s_add_nc_u64 s[20:21], s[10:11], s[20:21]
	s_delay_alu instid0(VALU_DEP_1) | instskip(NEXT) | instid1(VALU_DEP_2)
	v_cvt_f64_u32_e32 v[8:9], v7
	v_or_b32_e32 v5, 1, v6
	s_delay_alu instid0(VALU_DEP_1) | instskip(NEXT) | instid1(VALU_DEP_3)
	v_cvt_f64_u32_e32 v[6:7], v5
	v_ldexp_f64 v[8:9], v[8:9], 32
	s_delay_alu instid0(VALU_DEP_1) | instskip(NEXT) | instid1(VALU_DEP_1)
	v_add_f64_e32 v[6:7], v[8:9], v[6:7]
	v_cmp_gt_f64_e32 vcc_lo, 0x10000000, v[6:7]
	v_cndmask_b32_e64 v5, 0, 0x100, vcc_lo
	s_delay_alu instid0(VALU_DEP_1) | instskip(SKIP_1) | instid1(VALU_DEP_2)
	v_ldexp_f64 v[6:7], v[6:7], v5
	v_cndmask_b32_e64 v5, 0, 0xffffff80, vcc_lo
	v_rsq_f64_e32 v[8:9], v[6:7]
	v_cmp_class_f64_e64 vcc_lo, v[6:7], 0x260
	s_delay_alu instid0(TRANS32_DEP_1) | instskip(SKIP_1) | instid1(VALU_DEP_1)
	v_mul_f64_e32 v[10:11], v[6:7], v[8:9]
	v_mul_f64_e32 v[8:9], 0.5, v[8:9]
	v_fma_f64 v[12:13], -v[8:9], v[10:11], 0.5
	s_delay_alu instid0(VALU_DEP_1) | instskip(SKIP_1) | instid1(VALU_DEP_2)
	v_fmac_f64_e32 v[10:11], v[10:11], v[12:13]
	v_fmac_f64_e32 v[8:9], v[8:9], v[12:13]
	v_fma_f64 v[12:13], -v[10:11], v[10:11], v[6:7]
	s_delay_alu instid0(VALU_DEP_1) | instskip(NEXT) | instid1(VALU_DEP_1)
	v_fmac_f64_e32 v[10:11], v[12:13], v[8:9]
	v_fma_f64 v[12:13], -v[10:11], v[10:11], v[6:7]
	s_delay_alu instid0(VALU_DEP_1) | instskip(NEXT) | instid1(VALU_DEP_1)
	v_fmac_f64_e32 v[10:11], v[12:13], v[8:9]
	v_ldexp_f64 v[8:9], v[10:11], v5
	s_delay_alu instid0(VALU_DEP_1) | instskip(NEXT) | instid1(VALU_DEP_1)
	v_dual_cndmask_b32 v7, v9, v7 :: v_dual_cndmask_b32 v6, v8, v6
	v_add_f64_e32 v[6:7], -1.0, v[6:7]
	s_delay_alu instid0(VALU_DEP_1) | instskip(NEXT) | instid1(VALU_DEP_1)
	v_mul_f64_e32 v[6:7], 0.5, v[6:7]
	v_cvt_i32_f64_e32 v6, v[6:7]
	s_delay_alu instid0(VALU_DEP_1) | instskip(NEXT) | instid1(VALU_DEP_1)
	v_mad_u32 v5, v6, v6, v6
	v_lshrrev_b32_e32 v7, 31, v5
	s_delay_alu instid0(VALU_DEP_1) | instskip(NEXT) | instid1(VALU_DEP_1)
	v_dual_add_nc_u32 v5, v5, v7 :: v_dual_ashrrev_i32 v7, 31, v6
	v_ashrrev_i32_e32 v5, 1, v5
	s_delay_alu instid0(VALU_DEP_2) | instskip(NEXT) | instid1(VALU_DEP_2)
	v_mul_u64_e32 v[10:11], s[14:15], v[6:7]
	v_sub_nc_u32_e32 v4, v4, v5
	s_delay_alu instid0(VALU_DEP_1) | instskip(NEXT) | instid1(VALU_DEP_1)
	v_ashrrev_i32_e32 v5, 31, v4
	v_mul_u64_e32 v[8:9], s[14:15], v[4:5]
	s_delay_alu instid0(VALU_DEP_4) | instskip(SKIP_3) | instid1(SALU_CYCLE_1)
	v_lshl_add_u64 v[10:11], v[10:11], 3, s[20:21]
	global_load_b64 v[10:11], v[10:11], off
	v_lshl_add_u64 v[8:9], v[8:9], 3, s[20:21]
	s_mul_u64 s[20:21], s[24:25], s[2:3]
	s_lshl_b64 s[20:21], s[20:21], 3
	global_load_b64 v[8:9], v[8:9], off
	s_add_nc_u64 s[20:21], s[12:13], s[20:21]
	s_wait_loadcnt 0x0
	v_pk_mul_f32 v[12:13], v[8:9], v[2:3] op_sel:[0,1] op_sel_hi:[1,0]
	v_pk_mul_f32 v[2:3], v[8:9], v[2:3]
	s_delay_alu instid0(VALU_DEP_2) | instskip(NEXT) | instid1(VALU_DEP_2)
	v_add_f32_e32 v12, v12, v13
	v_pk_add_f32 v[2:3], v[2:3], v[2:3] op_sel:[0,1] op_sel_hi:[0,1] neg_lo:[0,1] neg_hi:[0,1]
	s_wait_xcnt 0x0
	s_delay_alu instid0(VALU_DEP_2) | instskip(NEXT) | instid1(VALU_DEP_1)
	v_pk_mul_f32 v[8:9], v[10:11], v[12:13] op_sel:[1,0] op_sel_hi:[0,0]
	v_pk_fma_f32 v[12:13], v[10:11], v[2:3], v[8:9]
	v_pk_fma_f32 v[2:3], v[10:11], v[2:3], v[8:9] neg_lo:[0,0,1] neg_hi:[0,0,1]
	s_delay_alu instid0(VALU_DEP_2) | instskip(SKIP_1) | instid1(VALU_DEP_1)
	v_mov_b32_e32 v3, v13
	v_mul_u64_e32 v[6:7], s[22:23], v[6:7]
	v_lshl_add_u64 v[6:7], v[6:7], 3, s[20:21]
	s_delay_alu instid0(VALU_DEP_1)
	v_lshl_add_u64 v[4:5], v[4:5], 3, v[6:7]
	global_load_b64 v[6:7], v[4:5], off
	s_wait_loadcnt 0x0
	v_pk_add_f32 v[2:3], v[6:7], v[2:3]
	global_store_b64 v[4:5], v[2:3], off
	s_branch .LBB17_2
.LBB17_7:
	s_endpgm
	.section	.rodata,"a",@progbits
	.p2align	6, 0x0
	.amdhsa_kernel _ZL18rocblas_syr_kernelILb1ELi1024E19rocblas_complex_numIfEPKS1_S3_PS1_EvimT2_lT3_lllT4_llli
		.amdhsa_group_segment_fixed_size 0
		.amdhsa_private_segment_fixed_size 0
		.amdhsa_kernarg_size 360
		.amdhsa_user_sgpr_count 2
		.amdhsa_user_sgpr_dispatch_ptr 0
		.amdhsa_user_sgpr_queue_ptr 0
		.amdhsa_user_sgpr_kernarg_segment_ptr 1
		.amdhsa_user_sgpr_dispatch_id 0
		.amdhsa_user_sgpr_kernarg_preload_length 0
		.amdhsa_user_sgpr_kernarg_preload_offset 0
		.amdhsa_user_sgpr_private_segment_size 0
		.amdhsa_wavefront_size32 1
		.amdhsa_uses_dynamic_stack 0
		.amdhsa_enable_private_segment 0
		.amdhsa_system_sgpr_workgroup_id_x 1
		.amdhsa_system_sgpr_workgroup_id_y 0
		.amdhsa_system_sgpr_workgroup_id_z 1
		.amdhsa_system_sgpr_workgroup_info 0
		.amdhsa_system_vgpr_workitem_id 0
		.amdhsa_next_free_vgpr 14
		.amdhsa_next_free_sgpr 31
		.amdhsa_named_barrier_count 0
		.amdhsa_reserve_vcc 1
		.amdhsa_float_round_mode_32 0
		.amdhsa_float_round_mode_16_64 0
		.amdhsa_float_denorm_mode_32 3
		.amdhsa_float_denorm_mode_16_64 3
		.amdhsa_fp16_overflow 0
		.amdhsa_memory_ordered 1
		.amdhsa_forward_progress 1
		.amdhsa_inst_pref_size 7
		.amdhsa_round_robin_scheduling 0
		.amdhsa_exception_fp_ieee_invalid_op 0
		.amdhsa_exception_fp_denorm_src 0
		.amdhsa_exception_fp_ieee_div_zero 0
		.amdhsa_exception_fp_ieee_overflow 0
		.amdhsa_exception_fp_ieee_underflow 0
		.amdhsa_exception_fp_ieee_inexact 0
		.amdhsa_exception_int_div_zero 0
	.end_amdhsa_kernel
	.section	.text._ZL18rocblas_syr_kernelILb1ELi1024E19rocblas_complex_numIfEPKS1_S3_PS1_EvimT2_lT3_lllT4_llli,"axG",@progbits,_ZL18rocblas_syr_kernelILb1ELi1024E19rocblas_complex_numIfEPKS1_S3_PS1_EvimT2_lT3_lllT4_llli,comdat
.Lfunc_end17:
	.size	_ZL18rocblas_syr_kernelILb1ELi1024E19rocblas_complex_numIfEPKS1_S3_PS1_EvimT2_lT3_lllT4_llli, .Lfunc_end17-_ZL18rocblas_syr_kernelILb1ELi1024E19rocblas_complex_numIfEPKS1_S3_PS1_EvimT2_lT3_lllT4_llli
                                        ; -- End function
	.set _ZL18rocblas_syr_kernelILb1ELi1024E19rocblas_complex_numIfEPKS1_S3_PS1_EvimT2_lT3_lllT4_llli.num_vgpr, 14
	.set _ZL18rocblas_syr_kernelILb1ELi1024E19rocblas_complex_numIfEPKS1_S3_PS1_EvimT2_lT3_lllT4_llli.num_agpr, 0
	.set _ZL18rocblas_syr_kernelILb1ELi1024E19rocblas_complex_numIfEPKS1_S3_PS1_EvimT2_lT3_lllT4_llli.numbered_sgpr, 31
	.set _ZL18rocblas_syr_kernelILb1ELi1024E19rocblas_complex_numIfEPKS1_S3_PS1_EvimT2_lT3_lllT4_llli.num_named_barrier, 0
	.set _ZL18rocblas_syr_kernelILb1ELi1024E19rocblas_complex_numIfEPKS1_S3_PS1_EvimT2_lT3_lllT4_llli.private_seg_size, 0
	.set _ZL18rocblas_syr_kernelILb1ELi1024E19rocblas_complex_numIfEPKS1_S3_PS1_EvimT2_lT3_lllT4_llli.uses_vcc, 1
	.set _ZL18rocblas_syr_kernelILb1ELi1024E19rocblas_complex_numIfEPKS1_S3_PS1_EvimT2_lT3_lllT4_llli.uses_flat_scratch, 0
	.set _ZL18rocblas_syr_kernelILb1ELi1024E19rocblas_complex_numIfEPKS1_S3_PS1_EvimT2_lT3_lllT4_llli.has_dyn_sized_stack, 0
	.set _ZL18rocblas_syr_kernelILb1ELi1024E19rocblas_complex_numIfEPKS1_S3_PS1_EvimT2_lT3_lllT4_llli.has_recursion, 0
	.set _ZL18rocblas_syr_kernelILb1ELi1024E19rocblas_complex_numIfEPKS1_S3_PS1_EvimT2_lT3_lllT4_llli.has_indirect_call, 0
	.section	.AMDGPU.csdata,"",@progbits
; Kernel info:
; codeLenInByte = 780
; TotalNumSgprs: 33
; NumVgprs: 14
; ScratchSize: 0
; MemoryBound: 0
; FloatMode: 240
; IeeeMode: 1
; LDSByteSize: 0 bytes/workgroup (compile time only)
; SGPRBlocks: 0
; VGPRBlocks: 0
; NumSGPRsForWavesPerEU: 33
; NumVGPRsForWavesPerEU: 14
; NamedBarCnt: 0
; Occupancy: 16
; WaveLimiterHint : 0
; COMPUTE_PGM_RSRC2:SCRATCH_EN: 0
; COMPUTE_PGM_RSRC2:USER_SGPR: 2
; COMPUTE_PGM_RSRC2:TRAP_HANDLER: 0
; COMPUTE_PGM_RSRC2:TGID_X_EN: 1
; COMPUTE_PGM_RSRC2:TGID_Y_EN: 0
; COMPUTE_PGM_RSRC2:TGID_Z_EN: 1
; COMPUTE_PGM_RSRC2:TIDIG_COMP_CNT: 0
	.section	.text._ZL23rocblas_syr_kernel_inc1ILb0ELi1024E19rocblas_complex_numIfEPKS1_S3_PS1_EvimT2_lT3_llT4_llli,"axG",@progbits,_ZL23rocblas_syr_kernel_inc1ILb0ELi1024E19rocblas_complex_numIfEPKS1_S3_PS1_EvimT2_lT3_llT4_llli,comdat
	.globl	_ZL23rocblas_syr_kernel_inc1ILb0ELi1024E19rocblas_complex_numIfEPKS1_S3_PS1_EvimT2_lT3_llT4_llli ; -- Begin function _ZL23rocblas_syr_kernel_inc1ILb0ELi1024E19rocblas_complex_numIfEPKS1_S3_PS1_EvimT2_lT3_llT4_llli
	.p2align	8
	.type	_ZL23rocblas_syr_kernel_inc1ILb0ELi1024E19rocblas_complex_numIfEPKS1_S3_PS1_EvimT2_lT3_llT4_llli,@function
_ZL23rocblas_syr_kernel_inc1ILb0ELi1024E19rocblas_complex_numIfEPKS1_S3_PS1_EvimT2_lT3_llT4_llli: ; @_ZL23rocblas_syr_kernel_inc1ILb0ELi1024E19rocblas_complex_numIfEPKS1_S3_PS1_EvimT2_lT3_llT4_llli
; %bb.0:
	s_load_b32 s26, s[0:1], 0x58
	s_bfe_u32 s2, ttmp6, 0x40014
	s_lshr_b32 s3, ttmp7, 16
	s_add_co_i32 s2, s2, 1
	s_bfe_u32 s4, ttmp6, 0x40008
	s_mul_i32 s2, s3, s2
	s_getreg_b32 s27, hwreg(HW_REG_IB_STS2, 6, 4)
	s_add_co_i32 s4, s4, s2
	s_cmp_eq_u32 s27, 0
	s_cselect_b32 s2, s3, s4
	s_mov_b32 s3, 0
	s_wait_kmcnt 0x0
	s_cmp_ge_u32 s2, s26
	s_cbranch_scc1 .LBB18_7
; %bb.1:
	s_clause 0x2
	s_load_b32 s24, s[0:1], 0x0
	s_load_b512 s[4:19], s[0:1], 0x8
	s_load_b128 s[20:23], s[0:1], 0x48
	s_bfe_u32 s25, ttmp6, 0x4000c
	s_and_b32 s28, ttmp6, 15
	s_add_co_i32 s25, s25, 1
	v_mov_b32_e32 v1, 0
	s_mul_i32 s25, ttmp9, s25
	s_wait_xcnt 0x0
	s_add_nc_u64 s[0:1], s[0:1], 0x60
	s_add_co_i32 s30, s28, s25
	s_wait_kmcnt 0x0
	s_ashr_i32 s25, s24, 31
	s_lshl_b64 s[18:19], s[18:19], 3
	s_lshl_b64 s[28:29], s[12:13], 3
	s_cmp_eq_u32 s27, 0
	s_add_nc_u64 s[12:13], s[16:17], s[18:19]
	s_add_nc_u64 s[10:11], s[10:11], s[28:29]
	s_cselect_b32 s16, ttmp9, s30
	s_add_co_i32 s17, s24, -1
	s_branch .LBB18_4
.LBB18_2:                               ;   in Loop: Header=BB18_4 Depth=1
	s_wait_xcnt 0x0
	s_or_b32 exec_lo, exec_lo, s18
.LBB18_3:                               ;   in Loop: Header=BB18_4 Depth=1
	s_add_co_i32 s2, s2, 0x10000
	s_delay_alu instid0(SALU_CYCLE_1)
	s_cmp_lt_u32 s2, s26
	s_cbranch_scc0 .LBB18_7
.LBB18_4:                               ; =>This Inner Loop Header: Depth=1
	s_wait_xcnt 0x0
	s_mul_u64 s[18:19], s[8:9], s[2:3]
	s_delay_alu instid0(SALU_CYCLE_1) | instskip(NEXT) | instid1(SALU_CYCLE_1)
	s_lshl_b64 s[18:19], s[18:19], 3
	s_add_nc_u64 s[18:19], s[6:7], s[18:19]
	global_load_b64 v[2:3], v1, s[18:19]
	s_wait_loadcnt 0x0
	v_or_b32_e32 v4, v2, v3
	s_delay_alu instid0(VALU_DEP_1) | instskip(NEXT) | instid1(VALU_DEP_1)
	v_and_b32_e32 v4, 0x7fffffff, v4
	v_cmp_eq_u32_e32 vcc_lo, 0, v4
	s_cbranch_vccnz .LBB18_3
; %bb.5:                                ;   in Loop: Header=BB18_4 Depth=1
	s_wait_xcnt 0x0
	s_load_b32 s18, s[0:1], 0xc
	s_wait_kmcnt 0x0
	s_and_b32 s18, s18, 0xffff
	s_delay_alu instid0(SALU_CYCLE_1) | instskip(SKIP_1) | instid1(VALU_DEP_1)
	v_mad_nc_u64_u32 v[4:5], s18, s16, v[0:1]
	s_mov_b32 s18, exec_lo
	v_cmpx_gt_u64_e64 s[4:5], v[4:5]
	s_cbranch_execz .LBB18_2
; %bb.6:                                ;   in Loop: Header=BB18_4 Depth=1
	v_not_b32_e32 v5, v5
	v_not_b32_e32 v4, v4
	s_mul_u64 s[28:29], s[14:15], s[2:3]
	s_delay_alu instid0(SALU_CYCLE_1) | instskip(NEXT) | instid1(VALU_DEP_1)
	s_lshl_b64 s[28:29], s[28:29], 3
	v_add_nc_u64_e32 v[4:5], s[4:5], v[4:5]
	s_add_nc_u64 s[28:29], s[10:11], s[28:29]
	s_delay_alu instid0(VALU_DEP_1) | instskip(SKIP_1) | instid1(VALU_DEP_2)
	v_lshlrev_b64_e32 v[6:7], 3, v[4:5]
	v_sub_nc_u32_e32 v4, s17, v4
	v_cvt_f64_u32_e32 v[8:9], v7
	s_delay_alu instid0(VALU_DEP_3) | instskip(NEXT) | instid1(VALU_DEP_1)
	v_or_b32_e32 v5, 1, v6
	v_cvt_f64_u32_e32 v[6:7], v5
	s_delay_alu instid0(VALU_DEP_3) | instskip(NEXT) | instid1(VALU_DEP_1)
	v_ldexp_f64 v[8:9], v[8:9], 32
	v_add_f64_e32 v[6:7], v[8:9], v[6:7]
	s_delay_alu instid0(VALU_DEP_1) | instskip(SKIP_1) | instid1(VALU_DEP_1)
	v_cmp_gt_f64_e32 vcc_lo, 0x10000000, v[6:7]
	v_cndmask_b32_e64 v5, 0, 0x100, vcc_lo
	v_ldexp_f64 v[6:7], v[6:7], v5
	v_cndmask_b32_e64 v5, 0, 0xffffff80, vcc_lo
	s_delay_alu instid0(VALU_DEP_2) | instskip(SKIP_1) | instid1(TRANS32_DEP_1)
	v_rsq_f64_e32 v[8:9], v[6:7]
	v_cmp_class_f64_e64 vcc_lo, v[6:7], 0x260
	v_mul_f64_e32 v[10:11], v[6:7], v[8:9]
	v_mul_f64_e32 v[8:9], 0.5, v[8:9]
	s_delay_alu instid0(VALU_DEP_1) | instskip(NEXT) | instid1(VALU_DEP_1)
	v_fma_f64 v[12:13], -v[8:9], v[10:11], 0.5
	v_fmac_f64_e32 v[10:11], v[10:11], v[12:13]
	v_fmac_f64_e32 v[8:9], v[8:9], v[12:13]
	s_delay_alu instid0(VALU_DEP_2) | instskip(NEXT) | instid1(VALU_DEP_1)
	v_fma_f64 v[12:13], -v[10:11], v[10:11], v[6:7]
	v_fmac_f64_e32 v[10:11], v[12:13], v[8:9]
	s_delay_alu instid0(VALU_DEP_1) | instskip(NEXT) | instid1(VALU_DEP_1)
	v_fma_f64 v[12:13], -v[10:11], v[10:11], v[6:7]
	v_fmac_f64_e32 v[10:11], v[12:13], v[8:9]
	s_delay_alu instid0(VALU_DEP_1) | instskip(NEXT) | instid1(VALU_DEP_1)
	v_ldexp_f64 v[8:9], v[10:11], v5
	v_dual_cndmask_b32 v7, v9, v7 :: v_dual_cndmask_b32 v6, v8, v6
	s_delay_alu instid0(VALU_DEP_1) | instskip(NEXT) | instid1(VALU_DEP_1)
	v_add_f64_e32 v[6:7], -1.0, v[6:7]
	v_mul_f64_e32 v[6:7], 0.5, v[6:7]
	s_delay_alu instid0(VALU_DEP_1) | instskip(NEXT) | instid1(VALU_DEP_1)
	v_cvt_i32_f64_e32 v6, v[6:7]
	v_mad_u32 v5, v6, v6, v6
	s_delay_alu instid0(VALU_DEP_1) | instskip(NEXT) | instid1(VALU_DEP_1)
	v_dual_sub_nc_u32 v8, s17, v6 :: v_dual_lshrrev_b32 v7, 31, v5
	v_dual_add_nc_u32 v5, v5, v7 :: v_dual_ashrrev_i32 v7, 31, v6
	s_delay_alu instid0(VALU_DEP_1) | instskip(NEXT) | instid1(VALU_DEP_2)
	v_dual_ashrrev_i32 v9, 31, v8 :: v_dual_ashrrev_i32 v5, 1, v5
	v_sub_nc_u64_e32 v[6:7], s[24:25], v[6:7]
	s_delay_alu instid0(VALU_DEP_2) | instskip(NEXT) | instid1(VALU_DEP_3)
	v_mul_u64_e32 v[8:9], s[20:21], v[8:9]
	v_add_nc_u32_e32 v4, v4, v5
	s_delay_alu instid0(VALU_DEP_3)
	v_lshl_add_u64 v[6:7], v[6:7], 3, s[28:29]
	s_clause 0x1
	global_load_b64 v[10:11], v4, s[28:29] scale_offset
	global_load_b64 v[6:7], v[6:7], off offset:-8
	s_wait_xcnt 0x1
	s_mul_u64 s[28:29], s[22:23], s[2:3]
	s_delay_alu instid0(SALU_CYCLE_1) | instskip(NEXT) | instid1(SALU_CYCLE_1)
	s_lshl_b64 s[28:29], s[28:29], 3
	s_add_nc_u64 s[28:29], s[12:13], s[28:29]
	s_delay_alu instid0(SALU_CYCLE_1) | instskip(SKIP_4) | instid1(VALU_DEP_3)
	v_lshl_add_u64 v[8:9], v[8:9], 3, s[28:29]
	s_wait_loadcnt 0x1
	v_pk_mul_f32 v[12:13], v[10:11], v[2:3] op_sel:[0,1] op_sel_hi:[1,0]
	v_ashrrev_i32_e32 v5, 31, v4
	v_pk_mul_f32 v[2:3], v[10:11], v[2:3]
	v_add_f32_e32 v12, v12, v13
	s_delay_alu instid0(VALU_DEP_3) | instskip(NEXT) | instid1(VALU_DEP_3)
	v_lshl_add_u64 v[4:5], v[4:5], 3, v[8:9]
	v_pk_add_f32 v[2:3], v[2:3], v[2:3] op_sel:[0,1] op_sel_hi:[0,1] neg_lo:[0,1] neg_hi:[0,1]
	s_wait_loadcnt 0x0
	s_delay_alu instid0(VALU_DEP_3) | instskip(SKIP_3) | instid1(VALU_DEP_2)
	v_pk_mul_f32 v[10:11], v[6:7], v[12:13] op_sel:[1,0] op_sel_hi:[0,0]
	global_load_b64 v[8:9], v[4:5], off
	v_pk_fma_f32 v[12:13], v[6:7], v[2:3], v[10:11]
	v_pk_fma_f32 v[2:3], v[6:7], v[2:3], v[10:11] neg_lo:[0,0,1] neg_hi:[0,0,1]
	v_mov_b32_e32 v3, v13
	s_wait_loadcnt 0x0
	s_delay_alu instid0(VALU_DEP_1)
	v_pk_add_f32 v[2:3], v[8:9], v[2:3]
	global_store_b64 v[4:5], v[2:3], off
	s_branch .LBB18_2
.LBB18_7:
	s_endpgm
	.section	.rodata,"a",@progbits
	.p2align	6, 0x0
	.amdhsa_kernel _ZL23rocblas_syr_kernel_inc1ILb0ELi1024E19rocblas_complex_numIfEPKS1_S3_PS1_EvimT2_lT3_llT4_llli
		.amdhsa_group_segment_fixed_size 0
		.amdhsa_private_segment_fixed_size 0
		.amdhsa_kernarg_size 352
		.amdhsa_user_sgpr_count 2
		.amdhsa_user_sgpr_dispatch_ptr 0
		.amdhsa_user_sgpr_queue_ptr 0
		.amdhsa_user_sgpr_kernarg_segment_ptr 1
		.amdhsa_user_sgpr_dispatch_id 0
		.amdhsa_user_sgpr_kernarg_preload_length 0
		.amdhsa_user_sgpr_kernarg_preload_offset 0
		.amdhsa_user_sgpr_private_segment_size 0
		.amdhsa_wavefront_size32 1
		.amdhsa_uses_dynamic_stack 0
		.amdhsa_enable_private_segment 0
		.amdhsa_system_sgpr_workgroup_id_x 1
		.amdhsa_system_sgpr_workgroup_id_y 0
		.amdhsa_system_sgpr_workgroup_id_z 1
		.amdhsa_system_sgpr_workgroup_info 0
		.amdhsa_system_vgpr_workitem_id 0
		.amdhsa_next_free_vgpr 14
		.amdhsa_next_free_sgpr 31
		.amdhsa_named_barrier_count 0
		.amdhsa_reserve_vcc 1
		.amdhsa_float_round_mode_32 0
		.amdhsa_float_round_mode_16_64 0
		.amdhsa_float_denorm_mode_32 3
		.amdhsa_float_denorm_mode_16_64 3
		.amdhsa_fp16_overflow 0
		.amdhsa_memory_ordered 1
		.amdhsa_forward_progress 1
		.amdhsa_inst_pref_size 7
		.amdhsa_round_robin_scheduling 0
		.amdhsa_exception_fp_ieee_invalid_op 0
		.amdhsa_exception_fp_denorm_src 0
		.amdhsa_exception_fp_ieee_div_zero 0
		.amdhsa_exception_fp_ieee_overflow 0
		.amdhsa_exception_fp_ieee_underflow 0
		.amdhsa_exception_fp_ieee_inexact 0
		.amdhsa_exception_int_div_zero 0
	.end_amdhsa_kernel
	.section	.text._ZL23rocblas_syr_kernel_inc1ILb0ELi1024E19rocblas_complex_numIfEPKS1_S3_PS1_EvimT2_lT3_llT4_llli,"axG",@progbits,_ZL23rocblas_syr_kernel_inc1ILb0ELi1024E19rocblas_complex_numIfEPKS1_S3_PS1_EvimT2_lT3_llT4_llli,comdat
.Lfunc_end18:
	.size	_ZL23rocblas_syr_kernel_inc1ILb0ELi1024E19rocblas_complex_numIfEPKS1_S3_PS1_EvimT2_lT3_llT4_llli, .Lfunc_end18-_ZL23rocblas_syr_kernel_inc1ILb0ELi1024E19rocblas_complex_numIfEPKS1_S3_PS1_EvimT2_lT3_llT4_llli
                                        ; -- End function
	.set _ZL23rocblas_syr_kernel_inc1ILb0ELi1024E19rocblas_complex_numIfEPKS1_S3_PS1_EvimT2_lT3_llT4_llli.num_vgpr, 14
	.set _ZL23rocblas_syr_kernel_inc1ILb0ELi1024E19rocblas_complex_numIfEPKS1_S3_PS1_EvimT2_lT3_llT4_llli.num_agpr, 0
	.set _ZL23rocblas_syr_kernel_inc1ILb0ELi1024E19rocblas_complex_numIfEPKS1_S3_PS1_EvimT2_lT3_llT4_llli.numbered_sgpr, 31
	.set _ZL23rocblas_syr_kernel_inc1ILb0ELi1024E19rocblas_complex_numIfEPKS1_S3_PS1_EvimT2_lT3_llT4_llli.num_named_barrier, 0
	.set _ZL23rocblas_syr_kernel_inc1ILb0ELi1024E19rocblas_complex_numIfEPKS1_S3_PS1_EvimT2_lT3_llT4_llli.private_seg_size, 0
	.set _ZL23rocblas_syr_kernel_inc1ILb0ELi1024E19rocblas_complex_numIfEPKS1_S3_PS1_EvimT2_lT3_llT4_llli.uses_vcc, 1
	.set _ZL23rocblas_syr_kernel_inc1ILb0ELi1024E19rocblas_complex_numIfEPKS1_S3_PS1_EvimT2_lT3_llT4_llli.uses_flat_scratch, 0
	.set _ZL23rocblas_syr_kernel_inc1ILb0ELi1024E19rocblas_complex_numIfEPKS1_S3_PS1_EvimT2_lT3_llT4_llli.has_dyn_sized_stack, 0
	.set _ZL23rocblas_syr_kernel_inc1ILb0ELi1024E19rocblas_complex_numIfEPKS1_S3_PS1_EvimT2_lT3_llT4_llli.has_recursion, 0
	.set _ZL23rocblas_syr_kernel_inc1ILb0ELi1024E19rocblas_complex_numIfEPKS1_S3_PS1_EvimT2_lT3_llT4_llli.has_indirect_call, 0
	.section	.AMDGPU.csdata,"",@progbits
; Kernel info:
; codeLenInByte = 824
; TotalNumSgprs: 33
; NumVgprs: 14
; ScratchSize: 0
; MemoryBound: 0
; FloatMode: 240
; IeeeMode: 1
; LDSByteSize: 0 bytes/workgroup (compile time only)
; SGPRBlocks: 0
; VGPRBlocks: 0
; NumSGPRsForWavesPerEU: 33
; NumVGPRsForWavesPerEU: 14
; NamedBarCnt: 0
; Occupancy: 16
; WaveLimiterHint : 0
; COMPUTE_PGM_RSRC2:SCRATCH_EN: 0
; COMPUTE_PGM_RSRC2:USER_SGPR: 2
; COMPUTE_PGM_RSRC2:TRAP_HANDLER: 0
; COMPUTE_PGM_RSRC2:TGID_X_EN: 1
; COMPUTE_PGM_RSRC2:TGID_Y_EN: 0
; COMPUTE_PGM_RSRC2:TGID_Z_EN: 1
; COMPUTE_PGM_RSRC2:TIDIG_COMP_CNT: 0
	.section	.text._ZL18rocblas_syr_kernelILb0ELi1024E19rocblas_complex_numIfEPKS1_S3_PS1_EvimT2_lT3_lllT4_llli,"axG",@progbits,_ZL18rocblas_syr_kernelILb0ELi1024E19rocblas_complex_numIfEPKS1_S3_PS1_EvimT2_lT3_lllT4_llli,comdat
	.globl	_ZL18rocblas_syr_kernelILb0ELi1024E19rocblas_complex_numIfEPKS1_S3_PS1_EvimT2_lT3_lllT4_llli ; -- Begin function _ZL18rocblas_syr_kernelILb0ELi1024E19rocblas_complex_numIfEPKS1_S3_PS1_EvimT2_lT3_lllT4_llli
	.p2align	8
	.type	_ZL18rocblas_syr_kernelILb0ELi1024E19rocblas_complex_numIfEPKS1_S3_PS1_EvimT2_lT3_lllT4_llli,@function
_ZL18rocblas_syr_kernelILb0ELi1024E19rocblas_complex_numIfEPKS1_S3_PS1_EvimT2_lT3_lllT4_llli: ; @_ZL18rocblas_syr_kernelILb0ELi1024E19rocblas_complex_numIfEPKS1_S3_PS1_EvimT2_lT3_lllT4_llli
; %bb.0:
	s_load_b32 s26, s[0:1], 0x60
	s_bfe_u32 s2, ttmp6, 0x40014
	s_lshr_b32 s3, ttmp7, 16
	s_add_co_i32 s2, s2, 1
	s_bfe_u32 s4, ttmp6, 0x40008
	s_mul_i32 s2, s3, s2
	s_getreg_b32 s27, hwreg(HW_REG_IB_STS2, 6, 4)
	s_add_co_i32 s4, s4, s2
	s_cmp_eq_u32 s27, 0
	s_cselect_b32 s2, s3, s4
	s_mov_b32 s3, 0
	s_wait_kmcnt 0x0
	s_cmp_ge_u32 s2, s26
	s_cbranch_scc1 .LBB19_7
; %bb.1:
	s_clause 0x3
	s_load_b128 s[20:23], s[0:1], 0x48
	s_load_b512 s[4:19], s[0:1], 0x8
	s_load_b32 s30, s[0:1], 0x0
	s_load_b64 s[24:25], s[0:1], 0x58
	s_bfe_u32 s28, ttmp6, 0x4000c
	s_and_b32 s29, ttmp6, 15
	s_add_co_i32 s28, s28, 1
	v_mov_b32_e32 v1, 0
	s_mul_i32 s28, ttmp9, s28
	s_wait_xcnt 0x0
	s_add_nc_u64 s[0:1], s[0:1], 0x68
	s_add_co_i32 s31, s29, s28
	s_wait_kmcnt 0x0
	s_lshl_b64 s[20:21], s[20:21], 3
	s_lshl_b64 s[28:29], s[12:13], 3
	s_cmp_eq_u32 s27, 0
	s_add_nc_u64 s[12:13], s[18:19], s[20:21]
	s_add_nc_u64 s[10:11], s[10:11], s[28:29]
	s_cselect_b32 s18, ttmp9, s31
	s_add_co_i32 s19, s30, -1
	s_branch .LBB19_4
.LBB19_2:                               ;   in Loop: Header=BB19_4 Depth=1
	s_wait_xcnt 0x0
	s_or_b32 exec_lo, exec_lo, s20
.LBB19_3:                               ;   in Loop: Header=BB19_4 Depth=1
	s_add_co_i32 s2, s2, 0x10000
	s_delay_alu instid0(SALU_CYCLE_1)
	s_cmp_lt_u32 s2, s26
	s_cbranch_scc0 .LBB19_7
.LBB19_4:                               ; =>This Inner Loop Header: Depth=1
	s_wait_xcnt 0x0
	s_mul_u64 s[20:21], s[8:9], s[2:3]
	s_delay_alu instid0(SALU_CYCLE_1) | instskip(NEXT) | instid1(SALU_CYCLE_1)
	s_lshl_b64 s[20:21], s[20:21], 3
	s_add_nc_u64 s[20:21], s[6:7], s[20:21]
	global_load_b64 v[2:3], v1, s[20:21]
	s_wait_loadcnt 0x0
	v_or_b32_e32 v4, v2, v3
	s_delay_alu instid0(VALU_DEP_1) | instskip(NEXT) | instid1(VALU_DEP_1)
	v_and_b32_e32 v4, 0x7fffffff, v4
	v_cmp_eq_u32_e32 vcc_lo, 0, v4
	s_cbranch_vccnz .LBB19_3
; %bb.5:                                ;   in Loop: Header=BB19_4 Depth=1
	s_wait_xcnt 0x0
	s_load_b32 s20, s[0:1], 0xc
	s_wait_kmcnt 0x0
	s_and_b32 s20, s20, 0xffff
	s_delay_alu instid0(SALU_CYCLE_1) | instskip(SKIP_1) | instid1(VALU_DEP_1)
	v_mad_nc_u64_u32 v[4:5], s20, s18, v[0:1]
	s_mov_b32 s20, exec_lo
	v_cmpx_gt_u64_e64 s[4:5], v[4:5]
	s_cbranch_execz .LBB19_2
; %bb.6:                                ;   in Loop: Header=BB19_4 Depth=1
	v_not_b32_e32 v5, v5
	v_not_b32_e32 v4, v4
	s_mul_u64 s[28:29], s[16:17], s[2:3]
	s_delay_alu instid0(SALU_CYCLE_1) | instskip(NEXT) | instid1(VALU_DEP_1)
	s_lshl_b64 s[28:29], s[28:29], 3
	v_add_nc_u64_e32 v[4:5], s[4:5], v[4:5]
	s_add_nc_u64 s[28:29], s[10:11], s[28:29]
	s_delay_alu instid0(VALU_DEP_1) | instskip(SKIP_1) | instid1(VALU_DEP_2)
	v_lshlrev_b64_e32 v[6:7], 3, v[4:5]
	v_sub_nc_u32_e32 v4, s19, v4
	v_cvt_f64_u32_e32 v[8:9], v7
	s_delay_alu instid0(VALU_DEP_3) | instskip(NEXT) | instid1(VALU_DEP_1)
	v_or_b32_e32 v5, 1, v6
	v_cvt_f64_u32_e32 v[6:7], v5
	s_delay_alu instid0(VALU_DEP_3) | instskip(NEXT) | instid1(VALU_DEP_1)
	v_ldexp_f64 v[8:9], v[8:9], 32
	v_add_f64_e32 v[6:7], v[8:9], v[6:7]
	s_delay_alu instid0(VALU_DEP_1) | instskip(SKIP_1) | instid1(VALU_DEP_1)
	v_cmp_gt_f64_e32 vcc_lo, 0x10000000, v[6:7]
	v_cndmask_b32_e64 v5, 0, 0x100, vcc_lo
	v_ldexp_f64 v[6:7], v[6:7], v5
	v_cndmask_b32_e64 v5, 0, 0xffffff80, vcc_lo
	s_delay_alu instid0(VALU_DEP_2) | instskip(SKIP_1) | instid1(TRANS32_DEP_1)
	v_rsq_f64_e32 v[8:9], v[6:7]
	v_cmp_class_f64_e64 vcc_lo, v[6:7], 0x260
	v_mul_f64_e32 v[10:11], v[6:7], v[8:9]
	v_mul_f64_e32 v[8:9], 0.5, v[8:9]
	s_delay_alu instid0(VALU_DEP_1) | instskip(NEXT) | instid1(VALU_DEP_1)
	v_fma_f64 v[12:13], -v[8:9], v[10:11], 0.5
	v_fmac_f64_e32 v[10:11], v[10:11], v[12:13]
	v_fmac_f64_e32 v[8:9], v[8:9], v[12:13]
	s_delay_alu instid0(VALU_DEP_2) | instskip(NEXT) | instid1(VALU_DEP_1)
	v_fma_f64 v[12:13], -v[10:11], v[10:11], v[6:7]
	v_fmac_f64_e32 v[10:11], v[12:13], v[8:9]
	s_delay_alu instid0(VALU_DEP_1) | instskip(NEXT) | instid1(VALU_DEP_1)
	v_fma_f64 v[12:13], -v[10:11], v[10:11], v[6:7]
	v_fmac_f64_e32 v[10:11], v[12:13], v[8:9]
	s_delay_alu instid0(VALU_DEP_1) | instskip(NEXT) | instid1(VALU_DEP_1)
	v_ldexp_f64 v[8:9], v[10:11], v5
	v_dual_cndmask_b32 v7, v9, v7 :: v_dual_cndmask_b32 v6, v8, v6
	s_delay_alu instid0(VALU_DEP_1) | instskip(NEXT) | instid1(VALU_DEP_1)
	v_add_f64_e32 v[6:7], -1.0, v[6:7]
	v_mul_f64_e32 v[6:7], 0.5, v[6:7]
	s_delay_alu instid0(VALU_DEP_1) | instskip(NEXT) | instid1(VALU_DEP_1)
	v_cvt_i32_f64_e32 v6, v[6:7]
	v_mad_u32 v5, v6, v6, v6
	s_delay_alu instid0(VALU_DEP_1) | instskip(NEXT) | instid1(VALU_DEP_1)
	v_dual_sub_nc_u32 v6, s19, v6 :: v_dual_lshrrev_b32 v7, 31, v5
	v_dual_add_nc_u32 v5, v5, v7 :: v_dual_ashrrev_i32 v7, 31, v6
	s_delay_alu instid0(VALU_DEP_1) | instskip(NEXT) | instid1(VALU_DEP_2)
	v_ashrrev_i32_e32 v5, 1, v5
	v_mul_u64_e32 v[10:11], s[14:15], v[6:7]
	s_delay_alu instid0(VALU_DEP_2) | instskip(NEXT) | instid1(VALU_DEP_1)
	v_add_nc_u32_e32 v4, v4, v5
	v_ashrrev_i32_e32 v5, 31, v4
	s_delay_alu instid0(VALU_DEP_1) | instskip(NEXT) | instid1(VALU_DEP_4)
	v_mul_u64_e32 v[8:9], s[14:15], v[4:5]
	v_lshl_add_u64 v[10:11], v[10:11], 3, s[28:29]
	global_load_b64 v[10:11], v[10:11], off
	v_lshl_add_u64 v[8:9], v[8:9], 3, s[28:29]
	s_mul_u64 s[28:29], s[24:25], s[2:3]
	s_delay_alu instid0(SALU_CYCLE_1)
	s_lshl_b64 s[28:29], s[28:29], 3
	global_load_b64 v[8:9], v[8:9], off
	s_add_nc_u64 s[28:29], s[12:13], s[28:29]
	s_wait_loadcnt 0x0
	v_pk_mul_f32 v[12:13], v[8:9], v[2:3] op_sel:[0,1] op_sel_hi:[1,0]
	v_pk_mul_f32 v[2:3], v[8:9], v[2:3]
	s_delay_alu instid0(VALU_DEP_2) | instskip(NEXT) | instid1(VALU_DEP_2)
	v_add_f32_e32 v12, v12, v13
	v_pk_add_f32 v[2:3], v[2:3], v[2:3] op_sel:[0,1] op_sel_hi:[0,1] neg_lo:[0,1] neg_hi:[0,1]
	s_wait_xcnt 0x0
	s_delay_alu instid0(VALU_DEP_2) | instskip(NEXT) | instid1(VALU_DEP_1)
	v_pk_mul_f32 v[8:9], v[10:11], v[12:13] op_sel:[1,0] op_sel_hi:[0,0]
	v_pk_fma_f32 v[12:13], v[10:11], v[2:3], v[8:9]
	v_pk_fma_f32 v[2:3], v[10:11], v[2:3], v[8:9] neg_lo:[0,0,1] neg_hi:[0,0,1]
	s_delay_alu instid0(VALU_DEP_2) | instskip(SKIP_1) | instid1(VALU_DEP_1)
	v_mov_b32_e32 v3, v13
	v_mul_u64_e32 v[6:7], s[22:23], v[6:7]
	v_lshl_add_u64 v[6:7], v[6:7], 3, s[28:29]
	s_delay_alu instid0(VALU_DEP_1)
	v_lshl_add_u64 v[4:5], v[4:5], 3, v[6:7]
	global_load_b64 v[6:7], v[4:5], off
	s_wait_loadcnt 0x0
	v_pk_add_f32 v[2:3], v[6:7], v[2:3]
	global_store_b64 v[4:5], v[2:3], off
	s_branch .LBB19_2
.LBB19_7:
	s_endpgm
	.section	.rodata,"a",@progbits
	.p2align	6, 0x0
	.amdhsa_kernel _ZL18rocblas_syr_kernelILb0ELi1024E19rocblas_complex_numIfEPKS1_S3_PS1_EvimT2_lT3_lllT4_llli
		.amdhsa_group_segment_fixed_size 0
		.amdhsa_private_segment_fixed_size 0
		.amdhsa_kernarg_size 360
		.amdhsa_user_sgpr_count 2
		.amdhsa_user_sgpr_dispatch_ptr 0
		.amdhsa_user_sgpr_queue_ptr 0
		.amdhsa_user_sgpr_kernarg_segment_ptr 1
		.amdhsa_user_sgpr_dispatch_id 0
		.amdhsa_user_sgpr_kernarg_preload_length 0
		.amdhsa_user_sgpr_kernarg_preload_offset 0
		.amdhsa_user_sgpr_private_segment_size 0
		.amdhsa_wavefront_size32 1
		.amdhsa_uses_dynamic_stack 0
		.amdhsa_enable_private_segment 0
		.amdhsa_system_sgpr_workgroup_id_x 1
		.amdhsa_system_sgpr_workgroup_id_y 0
		.amdhsa_system_sgpr_workgroup_id_z 1
		.amdhsa_system_sgpr_workgroup_info 0
		.amdhsa_system_vgpr_workitem_id 0
		.amdhsa_next_free_vgpr 14
		.amdhsa_next_free_sgpr 32
		.amdhsa_named_barrier_count 0
		.amdhsa_reserve_vcc 1
		.amdhsa_float_round_mode_32 0
		.amdhsa_float_round_mode_16_64 0
		.amdhsa_float_denorm_mode_32 3
		.amdhsa_float_denorm_mode_16_64 3
		.amdhsa_fp16_overflow 0
		.amdhsa_memory_ordered 1
		.amdhsa_forward_progress 1
		.amdhsa_inst_pref_size 7
		.amdhsa_round_robin_scheduling 0
		.amdhsa_exception_fp_ieee_invalid_op 0
		.amdhsa_exception_fp_denorm_src 0
		.amdhsa_exception_fp_ieee_div_zero 0
		.amdhsa_exception_fp_ieee_overflow 0
		.amdhsa_exception_fp_ieee_underflow 0
		.amdhsa_exception_fp_ieee_inexact 0
		.amdhsa_exception_int_div_zero 0
	.end_amdhsa_kernel
	.section	.text._ZL18rocblas_syr_kernelILb0ELi1024E19rocblas_complex_numIfEPKS1_S3_PS1_EvimT2_lT3_lllT4_llli,"axG",@progbits,_ZL18rocblas_syr_kernelILb0ELi1024E19rocblas_complex_numIfEPKS1_S3_PS1_EvimT2_lT3_lllT4_llli,comdat
.Lfunc_end19:
	.size	_ZL18rocblas_syr_kernelILb0ELi1024E19rocblas_complex_numIfEPKS1_S3_PS1_EvimT2_lT3_lllT4_llli, .Lfunc_end19-_ZL18rocblas_syr_kernelILb0ELi1024E19rocblas_complex_numIfEPKS1_S3_PS1_EvimT2_lT3_lllT4_llli
                                        ; -- End function
	.set _ZL18rocblas_syr_kernelILb0ELi1024E19rocblas_complex_numIfEPKS1_S3_PS1_EvimT2_lT3_lllT4_llli.num_vgpr, 14
	.set _ZL18rocblas_syr_kernelILb0ELi1024E19rocblas_complex_numIfEPKS1_S3_PS1_EvimT2_lT3_lllT4_llli.num_agpr, 0
	.set _ZL18rocblas_syr_kernelILb0ELi1024E19rocblas_complex_numIfEPKS1_S3_PS1_EvimT2_lT3_lllT4_llli.numbered_sgpr, 32
	.set _ZL18rocblas_syr_kernelILb0ELi1024E19rocblas_complex_numIfEPKS1_S3_PS1_EvimT2_lT3_lllT4_llli.num_named_barrier, 0
	.set _ZL18rocblas_syr_kernelILb0ELi1024E19rocblas_complex_numIfEPKS1_S3_PS1_EvimT2_lT3_lllT4_llli.private_seg_size, 0
	.set _ZL18rocblas_syr_kernelILb0ELi1024E19rocblas_complex_numIfEPKS1_S3_PS1_EvimT2_lT3_lllT4_llli.uses_vcc, 1
	.set _ZL18rocblas_syr_kernelILb0ELi1024E19rocblas_complex_numIfEPKS1_S3_PS1_EvimT2_lT3_lllT4_llli.uses_flat_scratch, 0
	.set _ZL18rocblas_syr_kernelILb0ELi1024E19rocblas_complex_numIfEPKS1_S3_PS1_EvimT2_lT3_lllT4_llli.has_dyn_sized_stack, 0
	.set _ZL18rocblas_syr_kernelILb0ELi1024E19rocblas_complex_numIfEPKS1_S3_PS1_EvimT2_lT3_lllT4_llli.has_recursion, 0
	.set _ZL18rocblas_syr_kernelILb0ELi1024E19rocblas_complex_numIfEPKS1_S3_PS1_EvimT2_lT3_lllT4_llli.has_indirect_call, 0
	.section	.AMDGPU.csdata,"",@progbits
; Kernel info:
; codeLenInByte = 824
; TotalNumSgprs: 34
; NumVgprs: 14
; ScratchSize: 0
; MemoryBound: 0
; FloatMode: 240
; IeeeMode: 1
; LDSByteSize: 0 bytes/workgroup (compile time only)
; SGPRBlocks: 0
; VGPRBlocks: 0
; NumSGPRsForWavesPerEU: 34
; NumVGPRsForWavesPerEU: 14
; NamedBarCnt: 0
; Occupancy: 16
; WaveLimiterHint : 0
; COMPUTE_PGM_RSRC2:SCRATCH_EN: 0
; COMPUTE_PGM_RSRC2:USER_SGPR: 2
; COMPUTE_PGM_RSRC2:TRAP_HANDLER: 0
; COMPUTE_PGM_RSRC2:TGID_X_EN: 1
; COMPUTE_PGM_RSRC2:TGID_Y_EN: 0
; COMPUTE_PGM_RSRC2:TGID_Z_EN: 1
; COMPUTE_PGM_RSRC2:TIDIG_COMP_CNT: 0
	.section	.text._ZL23rocblas_syr_kernel_inc1ILb1ELi1024E19rocblas_complex_numIfES1_PKS1_PS1_EvimT2_lT3_llT4_llli,"axG",@progbits,_ZL23rocblas_syr_kernel_inc1ILb1ELi1024E19rocblas_complex_numIfES1_PKS1_PS1_EvimT2_lT3_llT4_llli,comdat
	.globl	_ZL23rocblas_syr_kernel_inc1ILb1ELi1024E19rocblas_complex_numIfES1_PKS1_PS1_EvimT2_lT3_llT4_llli ; -- Begin function _ZL23rocblas_syr_kernel_inc1ILb1ELi1024E19rocblas_complex_numIfES1_PKS1_PS1_EvimT2_lT3_llT4_llli
	.p2align	8
	.type	_ZL23rocblas_syr_kernel_inc1ILb1ELi1024E19rocblas_complex_numIfES1_PKS1_PS1_EvimT2_lT3_llT4_llli,@function
_ZL23rocblas_syr_kernel_inc1ILb1ELi1024E19rocblas_complex_numIfES1_PKS1_PS1_EvimT2_lT3_llT4_llli: ; @_ZL23rocblas_syr_kernel_inc1ILb1ELi1024E19rocblas_complex_numIfES1_PKS1_PS1_EvimT2_lT3_llT4_llli
; %bb.0:
	s_load_b32 s24, s[0:1], 0x58
	s_bfe_u32 s2, ttmp6, 0x40014
	s_lshr_b32 s3, ttmp7, 16
	s_add_co_i32 s2, s2, 1
	s_bfe_u32 s4, ttmp6, 0x40008
	s_mul_i32 s2, s3, s2
	s_getreg_b32 s25, hwreg(HW_REG_IB_STS2, 6, 4)
	s_add_co_i32 s4, s4, s2
	s_cmp_eq_u32 s25, 0
	s_cselect_b32 s2, s3, s4
	s_mov_b32 s3, 0
	s_wait_kmcnt 0x0
	s_cmp_ge_u32 s2, s24
	s_cbranch_scc1 .LBB20_7
; %bb.1:
	s_clause 0x2
	s_load_b128 s[20:23], s[0:1], 0x8
	s_load_b256 s[4:11], s[0:1], 0x40
	s_load_b256 s[12:19], s[0:1], 0x20
	v_mov_b32_e32 v1, 0
	s_wait_xcnt 0x0
	s_add_nc_u64 s[0:1], s[0:1], 0x60
	s_wait_kmcnt 0x0
	s_or_b32 s26, s22, s23
	s_lshl_b64 s[10:11], s[4:5], 3
	s_and_b32 s4, s26, 0x7fffffff
	s_lshl_b64 s[26:27], s[14:15], 3
	s_cmp_lg_u32 s4, 0
	s_mov_b32 s4, s23
	s_cselect_b32 s14, -1, 0
	s_bfe_u32 s5, ttmp6, 0x4000c
	s_and_b32 s15, ttmp6, 15
	s_add_co_i32 s5, s5, 1
	s_add_nc_u64 s[10:11], s[18:19], s[10:11]
	s_mul_i32 s5, ttmp9, s5
	s_add_nc_u64 s[12:13], s[12:13], s[26:27]
	s_add_co_i32 s15, s15, s5
	s_cmp_eq_u32 s25, 0
	s_mov_b32 s5, s22
	s_cselect_b32 s15, ttmp9, s15
	s_branch .LBB20_4
.LBB20_2:                               ;   in Loop: Header=BB20_4 Depth=1
	s_wait_xcnt 0x0
	s_or_b32 exec_lo, exec_lo, s18
.LBB20_3:                               ;   in Loop: Header=BB20_4 Depth=1
	s_add_co_i32 s2, s2, 0x10000
	s_delay_alu instid0(SALU_CYCLE_1)
	s_cmp_lt_u32 s2, s24
	s_cbranch_scc0 .LBB20_7
.LBB20_4:                               ; =>This Inner Loop Header: Depth=1
	s_and_not1_b32 vcc_lo, exec_lo, s14
	s_cbranch_vccnz .LBB20_3
; %bb.5:                                ;   in Loop: Header=BB20_4 Depth=1
	s_load_b32 s18, s[0:1], 0xc
	s_wait_kmcnt 0x0
	s_and_b32 s18, s18, 0xffff
	s_delay_alu instid0(SALU_CYCLE_1) | instskip(SKIP_1) | instid1(VALU_DEP_1)
	v_mad_nc_u64_u32 v[2:3], s18, s15, v[0:1]
	s_mov_b32 s18, exec_lo
	v_cmpx_gt_u64_e64 s[20:21], v[2:3]
	s_cbranch_execz .LBB20_2
; %bb.6:                                ;   in Loop: Header=BB20_4 Depth=1
	v_lshlrev_b64_e32 v[4:5], 3, v[2:3]
	s_mul_u64 s[26:27], s[16:17], s[2:3]
	s_mul_u64 s[28:29], s[8:9], s[2:3]
	s_lshl_b64 s[26:27], s[26:27], 3
	v_mov_b64_e32 v[12:13], s[22:23]
	s_add_nc_u64 s[26:27], s[12:13], s[26:27]
	s_delay_alu instid0(VALU_DEP_2) | instskip(SKIP_1) | instid1(VALU_DEP_1)
	v_cvt_f64_u32_e32 v[6:7], v5
	v_or_b32_e32 v3, 1, v4
	v_cvt_f64_u32_e32 v[4:5], v3
	s_delay_alu instid0(VALU_DEP_3) | instskip(NEXT) | instid1(VALU_DEP_1)
	v_ldexp_f64 v[6:7], v[6:7], 32
	v_add_f64_e32 v[4:5], v[6:7], v[4:5]
	s_delay_alu instid0(VALU_DEP_1) | instskip(SKIP_1) | instid1(VALU_DEP_1)
	v_cmp_gt_f64_e32 vcc_lo, 0x10000000, v[4:5]
	v_cndmask_b32_e64 v3, 0, 0x100, vcc_lo
	v_ldexp_f64 v[4:5], v[4:5], v3
	v_cndmask_b32_e64 v3, 0, 0xffffff80, vcc_lo
	s_delay_alu instid0(VALU_DEP_2) | instskip(SKIP_1) | instid1(TRANS32_DEP_1)
	v_rsq_f64_e32 v[6:7], v[4:5]
	v_cmp_class_f64_e64 vcc_lo, v[4:5], 0x260
	v_mul_f64_e32 v[8:9], v[4:5], v[6:7]
	v_mul_f64_e32 v[6:7], 0.5, v[6:7]
	s_delay_alu instid0(VALU_DEP_1) | instskip(NEXT) | instid1(VALU_DEP_1)
	v_fma_f64 v[10:11], -v[6:7], v[8:9], 0.5
	v_fmac_f64_e32 v[8:9], v[8:9], v[10:11]
	v_fmac_f64_e32 v[6:7], v[6:7], v[10:11]
	s_delay_alu instid0(VALU_DEP_2) | instskip(NEXT) | instid1(VALU_DEP_1)
	v_fma_f64 v[10:11], -v[8:9], v[8:9], v[4:5]
	v_fmac_f64_e32 v[8:9], v[10:11], v[6:7]
	s_delay_alu instid0(VALU_DEP_1) | instskip(NEXT) | instid1(VALU_DEP_1)
	v_fma_f64 v[10:11], -v[8:9], v[8:9], v[4:5]
	v_fmac_f64_e32 v[8:9], v[10:11], v[6:7]
	v_mov_b64_e32 v[10:11], s[4:5]
	s_delay_alu instid0(VALU_DEP_2) | instskip(NEXT) | instid1(VALU_DEP_1)
	v_ldexp_f64 v[6:7], v[8:9], v3
	v_dual_cndmask_b32 v5, v7, v5 :: v_dual_cndmask_b32 v4, v6, v4
	s_delay_alu instid0(VALU_DEP_1) | instskip(NEXT) | instid1(VALU_DEP_1)
	v_add_f64_e32 v[4:5], -1.0, v[4:5]
	v_mul_f64_e32 v[4:5], 0.5, v[4:5]
	s_delay_alu instid0(VALU_DEP_1) | instskip(NEXT) | instid1(VALU_DEP_1)
	v_cvt_i32_f64_e32 v4, v[4:5]
	v_mad_u32 v3, v4, v4, v4
	v_ashrrev_i32_e32 v5, 31, v4
	s_delay_alu instid0(VALU_DEP_1) | instskip(SKIP_2) | instid1(VALU_DEP_1)
	v_mul_u64_e32 v[6:7], s[6:7], v[4:5]
	global_load_b64 v[4:5], v4, s[26:27] scale_offset
	v_lshrrev_b32_e32 v8, 31, v3
	v_add_nc_u32_e32 v3, v3, v8
	s_delay_alu instid0(VALU_DEP_1) | instskip(NEXT) | instid1(VALU_DEP_1)
	v_ashrrev_i32_e32 v3, 1, v3
	v_sub_nc_u32_e32 v2, v2, v3
	global_load_b64 v[8:9], v2, s[26:27] scale_offset
	s_wait_xcnt 0x0
	s_lshl_b64 s[26:27], s[28:29], 3
	v_ashrrev_i32_e32 v3, 31, v2
	s_add_nc_u64 s[26:27], s[10:11], s[26:27]
	s_delay_alu instid0(SALU_CYCLE_1) | instskip(NEXT) | instid1(VALU_DEP_1)
	v_lshl_add_u64 v[6:7], v[6:7], 3, s[26:27]
	v_lshl_add_u64 v[2:3], v[2:3], 3, v[6:7]
	global_load_b64 v[6:7], v[2:3], off
	s_wait_loadcnt 0x1
	v_pk_mul_f32 v[10:11], v[8:9], v[10:11]
	v_pk_mul_f32 v[8:9], v[8:9], v[12:13]
	s_delay_alu instid0(VALU_DEP_2) | instskip(NEXT) | instid1(VALU_DEP_2)
	v_add_f32_e32 v10, v10, v11
	v_pk_add_f32 v[8:9], v[8:9], v[8:9] op_sel:[0,1] op_sel_hi:[0,1] neg_lo:[0,1] neg_hi:[0,1]
	s_delay_alu instid0(VALU_DEP_2) | instskip(NEXT) | instid1(VALU_DEP_1)
	v_pk_mul_f32 v[10:11], v[4:5], v[10:11] op_sel:[1,0] op_sel_hi:[0,0]
	v_pk_fma_f32 v[12:13], v[4:5], v[8:9], v[10:11]
	v_pk_fma_f32 v[4:5], v[4:5], v[8:9], v[10:11] neg_lo:[0,0,1] neg_hi:[0,0,1]
	s_delay_alu instid0(VALU_DEP_2) | instskip(SKIP_1) | instid1(VALU_DEP_1)
	v_mov_b32_e32 v5, v13
	s_wait_loadcnt 0x0
	v_pk_add_f32 v[4:5], v[6:7], v[4:5]
	global_store_b64 v[2:3], v[4:5], off
	s_branch .LBB20_2
.LBB20_7:
	s_endpgm
	.section	.rodata,"a",@progbits
	.p2align	6, 0x0
	.amdhsa_kernel _ZL23rocblas_syr_kernel_inc1ILb1ELi1024E19rocblas_complex_numIfES1_PKS1_PS1_EvimT2_lT3_llT4_llli
		.amdhsa_group_segment_fixed_size 0
		.amdhsa_private_segment_fixed_size 0
		.amdhsa_kernarg_size 352
		.amdhsa_user_sgpr_count 2
		.amdhsa_user_sgpr_dispatch_ptr 0
		.amdhsa_user_sgpr_queue_ptr 0
		.amdhsa_user_sgpr_kernarg_segment_ptr 1
		.amdhsa_user_sgpr_dispatch_id 0
		.amdhsa_user_sgpr_kernarg_preload_length 0
		.amdhsa_user_sgpr_kernarg_preload_offset 0
		.amdhsa_user_sgpr_private_segment_size 0
		.amdhsa_wavefront_size32 1
		.amdhsa_uses_dynamic_stack 0
		.amdhsa_enable_private_segment 0
		.amdhsa_system_sgpr_workgroup_id_x 1
		.amdhsa_system_sgpr_workgroup_id_y 0
		.amdhsa_system_sgpr_workgroup_id_z 1
		.amdhsa_system_sgpr_workgroup_info 0
		.amdhsa_system_vgpr_workitem_id 0
		.amdhsa_next_free_vgpr 14
		.amdhsa_next_free_sgpr 30
		.amdhsa_named_barrier_count 0
		.amdhsa_reserve_vcc 1
		.amdhsa_float_round_mode_32 0
		.amdhsa_float_round_mode_16_64 0
		.amdhsa_float_denorm_mode_32 3
		.amdhsa_float_denorm_mode_16_64 3
		.amdhsa_fp16_overflow 0
		.amdhsa_memory_ordered 1
		.amdhsa_forward_progress 1
		.amdhsa_inst_pref_size 6
		.amdhsa_round_robin_scheduling 0
		.amdhsa_exception_fp_ieee_invalid_op 0
		.amdhsa_exception_fp_denorm_src 0
		.amdhsa_exception_fp_ieee_div_zero 0
		.amdhsa_exception_fp_ieee_overflow 0
		.amdhsa_exception_fp_ieee_underflow 0
		.amdhsa_exception_fp_ieee_inexact 0
		.amdhsa_exception_int_div_zero 0
	.end_amdhsa_kernel
	.section	.text._ZL23rocblas_syr_kernel_inc1ILb1ELi1024E19rocblas_complex_numIfES1_PKS1_PS1_EvimT2_lT3_llT4_llli,"axG",@progbits,_ZL23rocblas_syr_kernel_inc1ILb1ELi1024E19rocblas_complex_numIfES1_PKS1_PS1_EvimT2_lT3_llT4_llli,comdat
.Lfunc_end20:
	.size	_ZL23rocblas_syr_kernel_inc1ILb1ELi1024E19rocblas_complex_numIfES1_PKS1_PS1_EvimT2_lT3_llT4_llli, .Lfunc_end20-_ZL23rocblas_syr_kernel_inc1ILb1ELi1024E19rocblas_complex_numIfES1_PKS1_PS1_EvimT2_lT3_llT4_llli
                                        ; -- End function
	.set _ZL23rocblas_syr_kernel_inc1ILb1ELi1024E19rocblas_complex_numIfES1_PKS1_PS1_EvimT2_lT3_llT4_llli.num_vgpr, 14
	.set _ZL23rocblas_syr_kernel_inc1ILb1ELi1024E19rocblas_complex_numIfES1_PKS1_PS1_EvimT2_lT3_llT4_llli.num_agpr, 0
	.set _ZL23rocblas_syr_kernel_inc1ILb1ELi1024E19rocblas_complex_numIfES1_PKS1_PS1_EvimT2_lT3_llT4_llli.numbered_sgpr, 30
	.set _ZL23rocblas_syr_kernel_inc1ILb1ELi1024E19rocblas_complex_numIfES1_PKS1_PS1_EvimT2_lT3_llT4_llli.num_named_barrier, 0
	.set _ZL23rocblas_syr_kernel_inc1ILb1ELi1024E19rocblas_complex_numIfES1_PKS1_PS1_EvimT2_lT3_llT4_llli.private_seg_size, 0
	.set _ZL23rocblas_syr_kernel_inc1ILb1ELi1024E19rocblas_complex_numIfES1_PKS1_PS1_EvimT2_lT3_llT4_llli.uses_vcc, 1
	.set _ZL23rocblas_syr_kernel_inc1ILb1ELi1024E19rocblas_complex_numIfES1_PKS1_PS1_EvimT2_lT3_llT4_llli.uses_flat_scratch, 0
	.set _ZL23rocblas_syr_kernel_inc1ILb1ELi1024E19rocblas_complex_numIfES1_PKS1_PS1_EvimT2_lT3_llT4_llli.has_dyn_sized_stack, 0
	.set _ZL23rocblas_syr_kernel_inc1ILb1ELi1024E19rocblas_complex_numIfES1_PKS1_PS1_EvimT2_lT3_llT4_llli.has_recursion, 0
	.set _ZL23rocblas_syr_kernel_inc1ILb1ELi1024E19rocblas_complex_numIfES1_PKS1_PS1_EvimT2_lT3_llT4_llli.has_indirect_call, 0
	.section	.AMDGPU.csdata,"",@progbits
; Kernel info:
; codeLenInByte = 720
; TotalNumSgprs: 32
; NumVgprs: 14
; ScratchSize: 0
; MemoryBound: 0
; FloatMode: 240
; IeeeMode: 1
; LDSByteSize: 0 bytes/workgroup (compile time only)
; SGPRBlocks: 0
; VGPRBlocks: 0
; NumSGPRsForWavesPerEU: 32
; NumVGPRsForWavesPerEU: 14
; NamedBarCnt: 0
; Occupancy: 16
; WaveLimiterHint : 0
; COMPUTE_PGM_RSRC2:SCRATCH_EN: 0
; COMPUTE_PGM_RSRC2:USER_SGPR: 2
; COMPUTE_PGM_RSRC2:TRAP_HANDLER: 0
; COMPUTE_PGM_RSRC2:TGID_X_EN: 1
; COMPUTE_PGM_RSRC2:TGID_Y_EN: 0
; COMPUTE_PGM_RSRC2:TGID_Z_EN: 1
; COMPUTE_PGM_RSRC2:TIDIG_COMP_CNT: 0
	.section	.text._ZL18rocblas_syr_kernelILb1ELi1024E19rocblas_complex_numIfES1_PKS1_PS1_EvimT2_lT3_lllT4_llli,"axG",@progbits,_ZL18rocblas_syr_kernelILb1ELi1024E19rocblas_complex_numIfES1_PKS1_PS1_EvimT2_lT3_lllT4_llli,comdat
	.globl	_ZL18rocblas_syr_kernelILb1ELi1024E19rocblas_complex_numIfES1_PKS1_PS1_EvimT2_lT3_lllT4_llli ; -- Begin function _ZL18rocblas_syr_kernelILb1ELi1024E19rocblas_complex_numIfES1_PKS1_PS1_EvimT2_lT3_lllT4_llli
	.p2align	8
	.type	_ZL18rocblas_syr_kernelILb1ELi1024E19rocblas_complex_numIfES1_PKS1_PS1_EvimT2_lT3_lllT4_llli,@function
_ZL18rocblas_syr_kernelILb1ELi1024E19rocblas_complex_numIfES1_PKS1_PS1_EvimT2_lT3_lllT4_llli: ; @_ZL18rocblas_syr_kernelILb1ELi1024E19rocblas_complex_numIfES1_PKS1_PS1_EvimT2_lT3_lllT4_llli
; %bb.0:
	s_load_b32 s24, s[0:1], 0x60
	s_bfe_u32 s2, ttmp6, 0x40014
	s_lshr_b32 s3, ttmp7, 16
	s_add_co_i32 s2, s2, 1
	s_bfe_u32 s4, ttmp6, 0x40008
	s_mul_i32 s2, s3, s2
	s_getreg_b32 s25, hwreg(HW_REG_IB_STS2, 6, 4)
	s_add_co_i32 s4, s4, s2
	s_cmp_eq_u32 s25, 0
	s_cselect_b32 s2, s3, s4
	s_mov_b32 s3, 0
	s_wait_kmcnt 0x0
	s_cmp_ge_u32 s2, s24
	s_cbranch_scc1 .LBB21_7
; %bb.1:
	s_clause 0x1
	s_load_b128 s[20:23], s[0:1], 0x8
	s_load_b512 s[4:19], s[0:1], 0x20
	v_mov_b32_e32 v1, 0
	s_wait_xcnt 0x0
	s_add_nc_u64 s[0:1], s[0:1], 0x68
	s_wait_kmcnt 0x0
	s_or_b32 s28, s22, s23
	s_lshl_b64 s[26:27], s[14:15], 3
	s_and_b32 s14, s28, 0x7fffffff
	s_lshl_b64 s[28:29], s[6:7], 3
	s_cmp_lg_u32 s14, 0
	s_mov_b32 s6, s23
	s_cselect_b32 s14, -1, 0
	s_bfe_u32 s7, ttmp6, 0x4000c
	s_and_b32 s15, ttmp6, 15
	s_add_co_i32 s7, s7, 1
	s_add_nc_u64 s[12:13], s[12:13], s[26:27]
	s_mul_i32 s7, ttmp9, s7
	s_add_nc_u64 s[4:5], s[4:5], s[28:29]
	s_add_co_i32 s15, s15, s7
	s_cmp_eq_u32 s25, 0
	s_mov_b32 s7, s22
	s_cselect_b32 s15, ttmp9, s15
	s_branch .LBB21_4
.LBB21_2:                               ;   in Loop: Header=BB21_4 Depth=1
	s_wait_xcnt 0x0
	s_or_b32 exec_lo, exec_lo, s25
.LBB21_3:                               ;   in Loop: Header=BB21_4 Depth=1
	s_add_co_i32 s2, s2, 0x10000
	s_delay_alu instid0(SALU_CYCLE_1)
	s_cmp_lt_u32 s2, s24
	s_cbranch_scc0 .LBB21_7
.LBB21_4:                               ; =>This Inner Loop Header: Depth=1
	s_and_not1_b32 vcc_lo, exec_lo, s14
	s_cbranch_vccnz .LBB21_3
; %bb.5:                                ;   in Loop: Header=BB21_4 Depth=1
	s_load_b32 s25, s[0:1], 0xc
	s_wait_kmcnt 0x0
	s_and_b32 s25, s25, 0xffff
	s_delay_alu instid0(SALU_CYCLE_1) | instskip(SKIP_1) | instid1(VALU_DEP_1)
	v_mad_nc_u64_u32 v[2:3], s25, s15, v[0:1]
	s_mov_b32 s25, exec_lo
	v_cmpx_gt_u64_e64 s[20:21], v[2:3]
	s_cbranch_execz .LBB21_2
; %bb.6:                                ;   in Loop: Header=BB21_4 Depth=1
	v_lshlrev_b64_e32 v[4:5], 3, v[2:3]
	s_mul_u64 s[26:27], s[10:11], s[2:3]
	v_mov_b64_e32 v[12:13], s[22:23]
	s_lshl_b64 s[26:27], s[26:27], 3
	s_delay_alu instid0(SALU_CYCLE_1) | instskip(NEXT) | instid1(VALU_DEP_2)
	s_add_nc_u64 s[26:27], s[4:5], s[26:27]
	v_cvt_f64_u32_e32 v[6:7], v5
	s_delay_alu instid0(VALU_DEP_3) | instskip(NEXT) | instid1(VALU_DEP_1)
	v_or_b32_e32 v3, 1, v4
	v_cvt_f64_u32_e32 v[4:5], v3
	s_delay_alu instid0(VALU_DEP_3) | instskip(NEXT) | instid1(VALU_DEP_1)
	v_ldexp_f64 v[6:7], v[6:7], 32
	v_add_f64_e32 v[4:5], v[6:7], v[4:5]
	s_delay_alu instid0(VALU_DEP_1) | instskip(SKIP_1) | instid1(VALU_DEP_1)
	v_cmp_gt_f64_e32 vcc_lo, 0x10000000, v[4:5]
	v_cndmask_b32_e64 v3, 0, 0x100, vcc_lo
	v_ldexp_f64 v[4:5], v[4:5], v3
	v_cndmask_b32_e64 v3, 0, 0xffffff80, vcc_lo
	s_delay_alu instid0(VALU_DEP_2) | instskip(SKIP_1) | instid1(TRANS32_DEP_1)
	v_rsq_f64_e32 v[6:7], v[4:5]
	v_cmp_class_f64_e64 vcc_lo, v[4:5], 0x260
	v_mul_f64_e32 v[8:9], v[4:5], v[6:7]
	v_mul_f64_e32 v[6:7], 0.5, v[6:7]
	s_delay_alu instid0(VALU_DEP_1) | instskip(NEXT) | instid1(VALU_DEP_1)
	v_fma_f64 v[10:11], -v[6:7], v[8:9], 0.5
	v_fmac_f64_e32 v[8:9], v[8:9], v[10:11]
	v_fmac_f64_e32 v[6:7], v[6:7], v[10:11]
	s_delay_alu instid0(VALU_DEP_2) | instskip(NEXT) | instid1(VALU_DEP_1)
	v_fma_f64 v[10:11], -v[8:9], v[8:9], v[4:5]
	v_fmac_f64_e32 v[8:9], v[10:11], v[6:7]
	s_delay_alu instid0(VALU_DEP_1) | instskip(NEXT) | instid1(VALU_DEP_1)
	v_fma_f64 v[10:11], -v[8:9], v[8:9], v[4:5]
	v_fmac_f64_e32 v[8:9], v[10:11], v[6:7]
	v_mov_b64_e32 v[10:11], s[6:7]
	s_delay_alu instid0(VALU_DEP_2) | instskip(NEXT) | instid1(VALU_DEP_1)
	v_ldexp_f64 v[6:7], v[8:9], v3
	v_dual_cndmask_b32 v5, v7, v5 :: v_dual_cndmask_b32 v4, v6, v4
	s_delay_alu instid0(VALU_DEP_1) | instskip(NEXT) | instid1(VALU_DEP_1)
	v_add_f64_e32 v[4:5], -1.0, v[4:5]
	v_mul_f64_e32 v[4:5], 0.5, v[4:5]
	s_delay_alu instid0(VALU_DEP_1) | instskip(NEXT) | instid1(VALU_DEP_1)
	v_cvt_i32_f64_e32 v4, v[4:5]
	v_mad_u32 v3, v4, v4, v4
	s_delay_alu instid0(VALU_DEP_1) | instskip(NEXT) | instid1(VALU_DEP_1)
	v_lshrrev_b32_e32 v5, 31, v3
	v_dual_add_nc_u32 v3, v3, v5 :: v_dual_ashrrev_i32 v5, 31, v4
	s_delay_alu instid0(VALU_DEP_1) | instskip(NEXT) | instid1(VALU_DEP_2)
	v_ashrrev_i32_e32 v3, 1, v3
	v_mul_u64_e32 v[8:9], s[8:9], v[4:5]
	s_delay_alu instid0(VALU_DEP_2) | instskip(NEXT) | instid1(VALU_DEP_1)
	v_sub_nc_u32_e32 v2, v2, v3
	v_ashrrev_i32_e32 v3, 31, v2
	s_delay_alu instid0(VALU_DEP_1) | instskip(NEXT) | instid1(VALU_DEP_4)
	v_mul_u64_e32 v[6:7], s[8:9], v[2:3]
	v_lshl_add_u64 v[8:9], v[8:9], 3, s[26:27]
	global_load_b64 v[8:9], v[8:9], off
	v_lshl_add_u64 v[6:7], v[6:7], 3, s[26:27]
	s_mul_u64 s[26:27], s[18:19], s[2:3]
	s_delay_alu instid0(SALU_CYCLE_1)
	s_lshl_b64 s[26:27], s[26:27], 3
	global_load_b64 v[6:7], v[6:7], off
	s_add_nc_u64 s[26:27], s[12:13], s[26:27]
	s_wait_loadcnt 0x0
	v_pk_mul_f32 v[10:11], v[6:7], v[10:11]
	s_wait_xcnt 0x0
	v_pk_mul_f32 v[6:7], v[6:7], v[12:13]
	s_delay_alu instid0(VALU_DEP_2) | instskip(NEXT) | instid1(VALU_DEP_2)
	v_add_f32_e32 v10, v10, v11
	v_pk_add_f32 v[6:7], v[6:7], v[6:7] op_sel:[0,1] op_sel_hi:[0,1] neg_lo:[0,1] neg_hi:[0,1]
	s_delay_alu instid0(VALU_DEP_2) | instskip(NEXT) | instid1(VALU_DEP_1)
	v_pk_mul_f32 v[10:11], v[8:9], v[10:11] op_sel:[1,0] op_sel_hi:[0,0]
	v_pk_fma_f32 v[12:13], v[8:9], v[6:7], v[10:11]
	v_pk_fma_f32 v[6:7], v[8:9], v[6:7], v[10:11] neg_lo:[0,0,1] neg_hi:[0,0,1]
	s_delay_alu instid0(VALU_DEP_2) | instskip(SKIP_1) | instid1(VALU_DEP_1)
	v_mov_b32_e32 v7, v13
	v_mul_u64_e32 v[4:5], s[16:17], v[4:5]
	v_lshl_add_u64 v[4:5], v[4:5], 3, s[26:27]
	s_delay_alu instid0(VALU_DEP_1)
	v_lshl_add_u64 v[2:3], v[2:3], 3, v[4:5]
	global_load_b64 v[4:5], v[2:3], off
	s_wait_loadcnt 0x0
	v_pk_add_f32 v[4:5], v[4:5], v[6:7]
	global_store_b64 v[2:3], v[4:5], off
	s_branch .LBB21_2
.LBB21_7:
	s_endpgm
	.section	.rodata,"a",@progbits
	.p2align	6, 0x0
	.amdhsa_kernel _ZL18rocblas_syr_kernelILb1ELi1024E19rocblas_complex_numIfES1_PKS1_PS1_EvimT2_lT3_lllT4_llli
		.amdhsa_group_segment_fixed_size 0
		.amdhsa_private_segment_fixed_size 0
		.amdhsa_kernarg_size 360
		.amdhsa_user_sgpr_count 2
		.amdhsa_user_sgpr_dispatch_ptr 0
		.amdhsa_user_sgpr_queue_ptr 0
		.amdhsa_user_sgpr_kernarg_segment_ptr 1
		.amdhsa_user_sgpr_dispatch_id 0
		.amdhsa_user_sgpr_kernarg_preload_length 0
		.amdhsa_user_sgpr_kernarg_preload_offset 0
		.amdhsa_user_sgpr_private_segment_size 0
		.amdhsa_wavefront_size32 1
		.amdhsa_uses_dynamic_stack 0
		.amdhsa_enable_private_segment 0
		.amdhsa_system_sgpr_workgroup_id_x 1
		.amdhsa_system_sgpr_workgroup_id_y 0
		.amdhsa_system_sgpr_workgroup_id_z 1
		.amdhsa_system_sgpr_workgroup_info 0
		.amdhsa_system_vgpr_workitem_id 0
		.amdhsa_next_free_vgpr 14
		.amdhsa_next_free_sgpr 30
		.amdhsa_named_barrier_count 0
		.amdhsa_reserve_vcc 1
		.amdhsa_float_round_mode_32 0
		.amdhsa_float_round_mode_16_64 0
		.amdhsa_float_denorm_mode_32 3
		.amdhsa_float_denorm_mode_16_64 3
		.amdhsa_fp16_overflow 0
		.amdhsa_memory_ordered 1
		.amdhsa_forward_progress 1
		.amdhsa_inst_pref_size 6
		.amdhsa_round_robin_scheduling 0
		.amdhsa_exception_fp_ieee_invalid_op 0
		.amdhsa_exception_fp_denorm_src 0
		.amdhsa_exception_fp_ieee_div_zero 0
		.amdhsa_exception_fp_ieee_overflow 0
		.amdhsa_exception_fp_ieee_underflow 0
		.amdhsa_exception_fp_ieee_inexact 0
		.amdhsa_exception_int_div_zero 0
	.end_amdhsa_kernel
	.section	.text._ZL18rocblas_syr_kernelILb1ELi1024E19rocblas_complex_numIfES1_PKS1_PS1_EvimT2_lT3_lllT4_llli,"axG",@progbits,_ZL18rocblas_syr_kernelILb1ELi1024E19rocblas_complex_numIfES1_PKS1_PS1_EvimT2_lT3_lllT4_llli,comdat
.Lfunc_end21:
	.size	_ZL18rocblas_syr_kernelILb1ELi1024E19rocblas_complex_numIfES1_PKS1_PS1_EvimT2_lT3_lllT4_llli, .Lfunc_end21-_ZL18rocblas_syr_kernelILb1ELi1024E19rocblas_complex_numIfES1_PKS1_PS1_EvimT2_lT3_lllT4_llli
                                        ; -- End function
	.set _ZL18rocblas_syr_kernelILb1ELi1024E19rocblas_complex_numIfES1_PKS1_PS1_EvimT2_lT3_lllT4_llli.num_vgpr, 14
	.set _ZL18rocblas_syr_kernelILb1ELi1024E19rocblas_complex_numIfES1_PKS1_PS1_EvimT2_lT3_lllT4_llli.num_agpr, 0
	.set _ZL18rocblas_syr_kernelILb1ELi1024E19rocblas_complex_numIfES1_PKS1_PS1_EvimT2_lT3_lllT4_llli.numbered_sgpr, 30
	.set _ZL18rocblas_syr_kernelILb1ELi1024E19rocblas_complex_numIfES1_PKS1_PS1_EvimT2_lT3_lllT4_llli.num_named_barrier, 0
	.set _ZL18rocblas_syr_kernelILb1ELi1024E19rocblas_complex_numIfES1_PKS1_PS1_EvimT2_lT3_lllT4_llli.private_seg_size, 0
	.set _ZL18rocblas_syr_kernelILb1ELi1024E19rocblas_complex_numIfES1_PKS1_PS1_EvimT2_lT3_lllT4_llli.uses_vcc, 1
	.set _ZL18rocblas_syr_kernelILb1ELi1024E19rocblas_complex_numIfES1_PKS1_PS1_EvimT2_lT3_lllT4_llli.uses_flat_scratch, 0
	.set _ZL18rocblas_syr_kernelILb1ELi1024E19rocblas_complex_numIfES1_PKS1_PS1_EvimT2_lT3_lllT4_llli.has_dyn_sized_stack, 0
	.set _ZL18rocblas_syr_kernelILb1ELi1024E19rocblas_complex_numIfES1_PKS1_PS1_EvimT2_lT3_lllT4_llli.has_recursion, 0
	.set _ZL18rocblas_syr_kernelILb1ELi1024E19rocblas_complex_numIfES1_PKS1_PS1_EvimT2_lT3_lllT4_llli.has_indirect_call, 0
	.section	.AMDGPU.csdata,"",@progbits
; Kernel info:
; codeLenInByte = 756
; TotalNumSgprs: 32
; NumVgprs: 14
; ScratchSize: 0
; MemoryBound: 0
; FloatMode: 240
; IeeeMode: 1
; LDSByteSize: 0 bytes/workgroup (compile time only)
; SGPRBlocks: 0
; VGPRBlocks: 0
; NumSGPRsForWavesPerEU: 32
; NumVGPRsForWavesPerEU: 14
; NamedBarCnt: 0
; Occupancy: 16
; WaveLimiterHint : 0
; COMPUTE_PGM_RSRC2:SCRATCH_EN: 0
; COMPUTE_PGM_RSRC2:USER_SGPR: 2
; COMPUTE_PGM_RSRC2:TRAP_HANDLER: 0
; COMPUTE_PGM_RSRC2:TGID_X_EN: 1
; COMPUTE_PGM_RSRC2:TGID_Y_EN: 0
; COMPUTE_PGM_RSRC2:TGID_Z_EN: 1
; COMPUTE_PGM_RSRC2:TIDIG_COMP_CNT: 0
	.section	.text._ZL23rocblas_syr_kernel_inc1ILb0ELi1024E19rocblas_complex_numIfES1_PKS1_PS1_EvimT2_lT3_llT4_llli,"axG",@progbits,_ZL23rocblas_syr_kernel_inc1ILb0ELi1024E19rocblas_complex_numIfES1_PKS1_PS1_EvimT2_lT3_llT4_llli,comdat
	.globl	_ZL23rocblas_syr_kernel_inc1ILb0ELi1024E19rocblas_complex_numIfES1_PKS1_PS1_EvimT2_lT3_llT4_llli ; -- Begin function _ZL23rocblas_syr_kernel_inc1ILb0ELi1024E19rocblas_complex_numIfES1_PKS1_PS1_EvimT2_lT3_llT4_llli
	.p2align	8
	.type	_ZL23rocblas_syr_kernel_inc1ILb0ELi1024E19rocblas_complex_numIfES1_PKS1_PS1_EvimT2_lT3_llT4_llli,@function
_ZL23rocblas_syr_kernel_inc1ILb0ELi1024E19rocblas_complex_numIfES1_PKS1_PS1_EvimT2_lT3_llT4_llli: ; @_ZL23rocblas_syr_kernel_inc1ILb0ELi1024E19rocblas_complex_numIfES1_PKS1_PS1_EvimT2_lT3_llT4_llli
; %bb.0:
	s_load_b32 s26, s[0:1], 0x58
	s_bfe_u32 s2, ttmp6, 0x40014
	s_lshr_b32 s3, ttmp7, 16
	s_add_co_i32 s2, s2, 1
	s_bfe_u32 s4, ttmp6, 0x40008
	s_mul_i32 s2, s3, s2
	s_getreg_b32 s27, hwreg(HW_REG_IB_STS2, 6, 4)
	s_add_co_i32 s4, s4, s2
	s_cmp_eq_u32 s27, 0
	s_cselect_b32 s2, s3, s4
	s_mov_b32 s3, 0
	s_wait_kmcnt 0x0
	s_cmp_ge_u32 s2, s26
	s_cbranch_scc1 .LBB22_7
; %bb.1:
	s_clause 0x3
	s_load_b32 s24, s[0:1], 0x0
	s_load_b128 s[20:23], s[0:1], 0x8
	s_load_b256 s[4:11], s[0:1], 0x40
	s_load_b256 s[12:19], s[0:1], 0x20
	v_mov_b32_e32 v1, 0
	s_wait_xcnt 0x0
	s_add_nc_u64 s[0:1], s[0:1], 0x60
	s_wait_kmcnt 0x0
	s_ashr_i32 s25, s24, 31
	s_or_b32 s28, s22, s23
	s_lshl_b64 s[10:11], s[4:5], 3
	s_and_b32 s4, s28, 0x7fffffff
	s_lshl_b64 s[28:29], s[14:15], 3
	s_cmp_lg_u32 s4, 0
	s_mov_b32 s4, s23
	s_cselect_b32 s14, -1, 0
	s_bfe_u32 s5, ttmp6, 0x4000c
	s_and_b32 s15, ttmp6, 15
	s_add_co_i32 s5, s5, 1
	s_add_nc_u64 s[10:11], s[18:19], s[10:11]
	s_mul_i32 s5, ttmp9, s5
	s_add_nc_u64 s[12:13], s[12:13], s[28:29]
	s_add_co_i32 s15, s15, s5
	s_cmp_eq_u32 s27, 0
	s_mov_b32 s5, s22
	s_cselect_b32 s15, ttmp9, s15
	s_add_co_i32 s18, s24, -1
	s_branch .LBB22_4
.LBB22_2:                               ;   in Loop: Header=BB22_4 Depth=1
	s_wait_xcnt 0x0
	s_or_b32 exec_lo, exec_lo, s19
.LBB22_3:                               ;   in Loop: Header=BB22_4 Depth=1
	s_add_co_i32 s2, s2, 0x10000
	s_delay_alu instid0(SALU_CYCLE_1)
	s_cmp_lt_u32 s2, s26
	s_cbranch_scc0 .LBB22_7
.LBB22_4:                               ; =>This Inner Loop Header: Depth=1
	s_and_not1_b32 vcc_lo, exec_lo, s14
	s_cbranch_vccnz .LBB22_3
; %bb.5:                                ;   in Loop: Header=BB22_4 Depth=1
	s_load_b32 s19, s[0:1], 0xc
	s_wait_kmcnt 0x0
	s_and_b32 s19, s19, 0xffff
	s_delay_alu instid0(SALU_CYCLE_1) | instskip(SKIP_1) | instid1(VALU_DEP_1)
	v_mad_nc_u64_u32 v[2:3], s19, s15, v[0:1]
	s_mov_b32 s19, exec_lo
	v_cmpx_gt_u64_e64 s[20:21], v[2:3]
	s_cbranch_execz .LBB22_2
; %bb.6:                                ;   in Loop: Header=BB22_4 Depth=1
	v_not_b32_e32 v3, v3
	v_not_b32_e32 v2, v2
	s_mul_u64 s[28:29], s[16:17], s[2:3]
	v_mov_b64_e32 v[12:13], s[22:23]
	s_lshl_b64 s[28:29], s[28:29], 3
	s_delay_alu instid0(VALU_DEP_2) | instskip(SKIP_1) | instid1(VALU_DEP_1)
	v_add_nc_u64_e32 v[2:3], s[20:21], v[2:3]
	s_add_nc_u64 s[28:29], s[12:13], s[28:29]
	v_lshlrev_b64_e32 v[4:5], 3, v[2:3]
	v_sub_nc_u32_e32 v2, s18, v2
	s_delay_alu instid0(VALU_DEP_2) | instskip(NEXT) | instid1(VALU_DEP_3)
	v_cvt_f64_u32_e32 v[6:7], v5
	v_or_b32_e32 v3, 1, v4
	s_delay_alu instid0(VALU_DEP_1) | instskip(NEXT) | instid1(VALU_DEP_3)
	v_cvt_f64_u32_e32 v[4:5], v3
	v_ldexp_f64 v[6:7], v[6:7], 32
	s_delay_alu instid0(VALU_DEP_1) | instskip(NEXT) | instid1(VALU_DEP_1)
	v_add_f64_e32 v[4:5], v[6:7], v[4:5]
	v_cmp_gt_f64_e32 vcc_lo, 0x10000000, v[4:5]
	v_cndmask_b32_e64 v3, 0, 0x100, vcc_lo
	s_delay_alu instid0(VALU_DEP_1) | instskip(SKIP_1) | instid1(VALU_DEP_2)
	v_ldexp_f64 v[4:5], v[4:5], v3
	v_cndmask_b32_e64 v3, 0, 0xffffff80, vcc_lo
	v_rsq_f64_e32 v[6:7], v[4:5]
	v_cmp_class_f64_e64 vcc_lo, v[4:5], 0x260
	s_delay_alu instid0(TRANS32_DEP_1) | instskip(SKIP_1) | instid1(VALU_DEP_1)
	v_mul_f64_e32 v[8:9], v[4:5], v[6:7]
	v_mul_f64_e32 v[6:7], 0.5, v[6:7]
	v_fma_f64 v[10:11], -v[6:7], v[8:9], 0.5
	s_delay_alu instid0(VALU_DEP_1) | instskip(SKIP_1) | instid1(VALU_DEP_2)
	v_fmac_f64_e32 v[8:9], v[8:9], v[10:11]
	v_fmac_f64_e32 v[6:7], v[6:7], v[10:11]
	v_fma_f64 v[10:11], -v[8:9], v[8:9], v[4:5]
	s_delay_alu instid0(VALU_DEP_1) | instskip(NEXT) | instid1(VALU_DEP_1)
	v_fmac_f64_e32 v[8:9], v[10:11], v[6:7]
	v_fma_f64 v[10:11], -v[8:9], v[8:9], v[4:5]
	s_delay_alu instid0(VALU_DEP_1) | instskip(SKIP_1) | instid1(VALU_DEP_2)
	v_fmac_f64_e32 v[8:9], v[10:11], v[6:7]
	v_mov_b64_e32 v[10:11], s[4:5]
	v_ldexp_f64 v[6:7], v[8:9], v3
	s_delay_alu instid0(VALU_DEP_1) | instskip(NEXT) | instid1(VALU_DEP_1)
	v_dual_cndmask_b32 v5, v7, v5 :: v_dual_cndmask_b32 v4, v6, v4
	v_add_f64_e32 v[4:5], -1.0, v[4:5]
	s_delay_alu instid0(VALU_DEP_1) | instskip(NEXT) | instid1(VALU_DEP_1)
	v_mul_f64_e32 v[4:5], 0.5, v[4:5]
	v_cvt_i32_f64_e32 v4, v[4:5]
	s_delay_alu instid0(VALU_DEP_1) | instskip(NEXT) | instid1(VALU_DEP_1)
	v_mad_u32 v3, v4, v4, v4
	v_dual_sub_nc_u32 v6, s18, v4 :: v_dual_lshrrev_b32 v5, 31, v3
	s_delay_alu instid0(VALU_DEP_1) | instskip(NEXT) | instid1(VALU_DEP_1)
	v_dual_add_nc_u32 v3, v3, v5 :: v_dual_ashrrev_i32 v5, 31, v4
	v_dual_ashrrev_i32 v7, 31, v6 :: v_dual_ashrrev_i32 v3, 1, v3
	s_delay_alu instid0(VALU_DEP_2) | instskip(NEXT) | instid1(VALU_DEP_2)
	v_sub_nc_u64_e32 v[4:5], s[24:25], v[4:5]
	v_mul_u64_e32 v[6:7], s[6:7], v[6:7]
	s_delay_alu instid0(VALU_DEP_3) | instskip(NEXT) | instid1(VALU_DEP_3)
	v_add_nc_u32_e32 v2, v2, v3
	v_lshl_add_u64 v[4:5], v[4:5], 3, s[28:29]
	s_clause 0x1
	global_load_b64 v[8:9], v2, s[28:29] scale_offset
	global_load_b64 v[4:5], v[4:5], off offset:-8
	s_wait_xcnt 0x1
	s_mul_u64 s[28:29], s[8:9], s[2:3]
	s_delay_alu instid0(SALU_CYCLE_1) | instskip(NEXT) | instid1(SALU_CYCLE_1)
	s_lshl_b64 s[28:29], s[28:29], 3
	s_add_nc_u64 s[28:29], s[10:11], s[28:29]
	s_delay_alu instid0(SALU_CYCLE_1) | instskip(SKIP_4) | instid1(VALU_DEP_3)
	v_lshl_add_u64 v[6:7], v[6:7], 3, s[28:29]
	s_wait_loadcnt 0x1
	v_pk_mul_f32 v[10:11], v[8:9], v[10:11]
	v_ashrrev_i32_e32 v3, 31, v2
	v_pk_mul_f32 v[8:9], v[8:9], v[12:13]
	v_add_f32_e32 v10, v10, v11
	s_delay_alu instid0(VALU_DEP_3) | instskip(NEXT) | instid1(VALU_DEP_3)
	v_lshl_add_u64 v[2:3], v[2:3], 3, v[6:7]
	v_pk_add_f32 v[8:9], v[8:9], v[8:9] op_sel:[0,1] op_sel_hi:[0,1] neg_lo:[0,1] neg_hi:[0,1]
	s_wait_loadcnt 0x0
	s_delay_alu instid0(VALU_DEP_3) | instskip(SKIP_4) | instid1(VALU_DEP_2)
	v_pk_mul_f32 v[10:11], v[4:5], v[10:11] op_sel:[1,0] op_sel_hi:[0,0]
	global_load_b64 v[6:7], v[2:3], off
	v_pk_fma_f32 v[12:13], v[4:5], v[8:9], v[10:11]
	s_wait_xcnt 0x1
	v_pk_fma_f32 v[4:5], v[4:5], v[8:9], v[10:11] neg_lo:[0,0,1] neg_hi:[0,0,1]
	v_mov_b32_e32 v5, v13
	s_wait_loadcnt 0x0
	s_delay_alu instid0(VALU_DEP_1)
	v_pk_add_f32 v[4:5], v[6:7], v[4:5]
	global_store_b64 v[2:3], v[4:5], off
	s_branch .LBB22_2
.LBB22_7:
	s_endpgm
	.section	.rodata,"a",@progbits
	.p2align	6, 0x0
	.amdhsa_kernel _ZL23rocblas_syr_kernel_inc1ILb0ELi1024E19rocblas_complex_numIfES1_PKS1_PS1_EvimT2_lT3_llT4_llli
		.amdhsa_group_segment_fixed_size 0
		.amdhsa_private_segment_fixed_size 0
		.amdhsa_kernarg_size 352
		.amdhsa_user_sgpr_count 2
		.amdhsa_user_sgpr_dispatch_ptr 0
		.amdhsa_user_sgpr_queue_ptr 0
		.amdhsa_user_sgpr_kernarg_segment_ptr 1
		.amdhsa_user_sgpr_dispatch_id 0
		.amdhsa_user_sgpr_kernarg_preload_length 0
		.amdhsa_user_sgpr_kernarg_preload_offset 0
		.amdhsa_user_sgpr_private_segment_size 0
		.amdhsa_wavefront_size32 1
		.amdhsa_uses_dynamic_stack 0
		.amdhsa_enable_private_segment 0
		.amdhsa_system_sgpr_workgroup_id_x 1
		.amdhsa_system_sgpr_workgroup_id_y 0
		.amdhsa_system_sgpr_workgroup_id_z 1
		.amdhsa_system_sgpr_workgroup_info 0
		.amdhsa_system_vgpr_workitem_id 0
		.amdhsa_next_free_vgpr 14
		.amdhsa_next_free_sgpr 30
		.amdhsa_named_barrier_count 0
		.amdhsa_reserve_vcc 1
		.amdhsa_float_round_mode_32 0
		.amdhsa_float_round_mode_16_64 0
		.amdhsa_float_denorm_mode_32 3
		.amdhsa_float_denorm_mode_16_64 3
		.amdhsa_fp16_overflow 0
		.amdhsa_memory_ordered 1
		.amdhsa_forward_progress 1
		.amdhsa_inst_pref_size 7
		.amdhsa_round_robin_scheduling 0
		.amdhsa_exception_fp_ieee_invalid_op 0
		.amdhsa_exception_fp_denorm_src 0
		.amdhsa_exception_fp_ieee_div_zero 0
		.amdhsa_exception_fp_ieee_overflow 0
		.amdhsa_exception_fp_ieee_underflow 0
		.amdhsa_exception_fp_ieee_inexact 0
		.amdhsa_exception_int_div_zero 0
	.end_amdhsa_kernel
	.section	.text._ZL23rocblas_syr_kernel_inc1ILb0ELi1024E19rocblas_complex_numIfES1_PKS1_PS1_EvimT2_lT3_llT4_llli,"axG",@progbits,_ZL23rocblas_syr_kernel_inc1ILb0ELi1024E19rocblas_complex_numIfES1_PKS1_PS1_EvimT2_lT3_llT4_llli,comdat
.Lfunc_end22:
	.size	_ZL23rocblas_syr_kernel_inc1ILb0ELi1024E19rocblas_complex_numIfES1_PKS1_PS1_EvimT2_lT3_llT4_llli, .Lfunc_end22-_ZL23rocblas_syr_kernel_inc1ILb0ELi1024E19rocblas_complex_numIfES1_PKS1_PS1_EvimT2_lT3_llT4_llli
                                        ; -- End function
	.set _ZL23rocblas_syr_kernel_inc1ILb0ELi1024E19rocblas_complex_numIfES1_PKS1_PS1_EvimT2_lT3_llT4_llli.num_vgpr, 14
	.set _ZL23rocblas_syr_kernel_inc1ILb0ELi1024E19rocblas_complex_numIfES1_PKS1_PS1_EvimT2_lT3_llT4_llli.num_agpr, 0
	.set _ZL23rocblas_syr_kernel_inc1ILb0ELi1024E19rocblas_complex_numIfES1_PKS1_PS1_EvimT2_lT3_llT4_llli.numbered_sgpr, 30
	.set _ZL23rocblas_syr_kernel_inc1ILb0ELi1024E19rocblas_complex_numIfES1_PKS1_PS1_EvimT2_lT3_llT4_llli.num_named_barrier, 0
	.set _ZL23rocblas_syr_kernel_inc1ILb0ELi1024E19rocblas_complex_numIfES1_PKS1_PS1_EvimT2_lT3_llT4_llli.private_seg_size, 0
	.set _ZL23rocblas_syr_kernel_inc1ILb0ELi1024E19rocblas_complex_numIfES1_PKS1_PS1_EvimT2_lT3_llT4_llli.uses_vcc, 1
	.set _ZL23rocblas_syr_kernel_inc1ILb0ELi1024E19rocblas_complex_numIfES1_PKS1_PS1_EvimT2_lT3_llT4_llli.uses_flat_scratch, 0
	.set _ZL23rocblas_syr_kernel_inc1ILb0ELi1024E19rocblas_complex_numIfES1_PKS1_PS1_EvimT2_lT3_llT4_llli.has_dyn_sized_stack, 0
	.set _ZL23rocblas_syr_kernel_inc1ILb0ELi1024E19rocblas_complex_numIfES1_PKS1_PS1_EvimT2_lT3_llT4_llli.has_recursion, 0
	.set _ZL23rocblas_syr_kernel_inc1ILb0ELi1024E19rocblas_complex_numIfES1_PKS1_PS1_EvimT2_lT3_llT4_llli.has_indirect_call, 0
	.section	.AMDGPU.csdata,"",@progbits
; Kernel info:
; codeLenInByte = 812
; TotalNumSgprs: 32
; NumVgprs: 14
; ScratchSize: 0
; MemoryBound: 0
; FloatMode: 240
; IeeeMode: 1
; LDSByteSize: 0 bytes/workgroup (compile time only)
; SGPRBlocks: 0
; VGPRBlocks: 0
; NumSGPRsForWavesPerEU: 32
; NumVGPRsForWavesPerEU: 14
; NamedBarCnt: 0
; Occupancy: 16
; WaveLimiterHint : 0
; COMPUTE_PGM_RSRC2:SCRATCH_EN: 0
; COMPUTE_PGM_RSRC2:USER_SGPR: 2
; COMPUTE_PGM_RSRC2:TRAP_HANDLER: 0
; COMPUTE_PGM_RSRC2:TGID_X_EN: 1
; COMPUTE_PGM_RSRC2:TGID_Y_EN: 0
; COMPUTE_PGM_RSRC2:TGID_Z_EN: 1
; COMPUTE_PGM_RSRC2:TIDIG_COMP_CNT: 0
	.section	.text._ZL18rocblas_syr_kernelILb0ELi1024E19rocblas_complex_numIfES1_PKS1_PS1_EvimT2_lT3_lllT4_llli,"axG",@progbits,_ZL18rocblas_syr_kernelILb0ELi1024E19rocblas_complex_numIfES1_PKS1_PS1_EvimT2_lT3_lllT4_llli,comdat
	.globl	_ZL18rocblas_syr_kernelILb0ELi1024E19rocblas_complex_numIfES1_PKS1_PS1_EvimT2_lT3_lllT4_llli ; -- Begin function _ZL18rocblas_syr_kernelILb0ELi1024E19rocblas_complex_numIfES1_PKS1_PS1_EvimT2_lT3_lllT4_llli
	.p2align	8
	.type	_ZL18rocblas_syr_kernelILb0ELi1024E19rocblas_complex_numIfES1_PKS1_PS1_EvimT2_lT3_lllT4_llli,@function
_ZL18rocblas_syr_kernelILb0ELi1024E19rocblas_complex_numIfES1_PKS1_PS1_EvimT2_lT3_lllT4_llli: ; @_ZL18rocblas_syr_kernelILb0ELi1024E19rocblas_complex_numIfES1_PKS1_PS1_EvimT2_lT3_lllT4_llli
; %bb.0:
	s_load_b32 s24, s[0:1], 0x60
	s_bfe_u32 s2, ttmp6, 0x40014
	s_lshr_b32 s3, ttmp7, 16
	s_add_co_i32 s2, s2, 1
	s_bfe_u32 s4, ttmp6, 0x40008
	s_mul_i32 s2, s3, s2
	s_getreg_b32 s25, hwreg(HW_REG_IB_STS2, 6, 4)
	s_add_co_i32 s4, s4, s2
	s_cmp_eq_u32 s25, 0
	s_cselect_b32 s2, s3, s4
	s_mov_b32 s3, 0
	s_wait_kmcnt 0x0
	s_cmp_ge_u32 s2, s24
	s_cbranch_scc1 .LBB23_7
; %bb.1:
	s_clause 0x2
	s_load_b128 s[20:23], s[0:1], 0x8
	s_load_b512 s[4:19], s[0:1], 0x20
	s_load_b32 s30, s[0:1], 0x0
	v_mov_b32_e32 v1, 0
	s_wait_xcnt 0x0
	s_add_nc_u64 s[0:1], s[0:1], 0x68
	s_wait_kmcnt 0x0
	s_or_b32 s28, s22, s23
	s_lshl_b64 s[26:27], s[14:15], 3
	s_and_b32 s14, s28, 0x7fffffff
	s_lshl_b64 s[28:29], s[6:7], 3
	s_cmp_lg_u32 s14, 0
	s_mov_b32 s6, s23
	s_cselect_b32 s14, -1, 0
	s_bfe_u32 s7, ttmp6, 0x4000c
	s_and_b32 s15, ttmp6, 15
	s_add_co_i32 s7, s7, 1
	s_add_nc_u64 s[12:13], s[12:13], s[26:27]
	s_mul_i32 s7, ttmp9, s7
	s_add_nc_u64 s[4:5], s[4:5], s[28:29]
	s_add_co_i32 s15, s15, s7
	s_cmp_eq_u32 s25, 0
	s_mov_b32 s7, s22
	s_cselect_b32 s15, ttmp9, s15
	s_add_co_i32 s25, s30, -1
	s_branch .LBB23_4
.LBB23_2:                               ;   in Loop: Header=BB23_4 Depth=1
	s_wait_xcnt 0x0
	s_or_b32 exec_lo, exec_lo, s26
.LBB23_3:                               ;   in Loop: Header=BB23_4 Depth=1
	s_add_co_i32 s2, s2, 0x10000
	s_delay_alu instid0(SALU_CYCLE_1)
	s_cmp_lt_u32 s2, s24
	s_cbranch_scc0 .LBB23_7
.LBB23_4:                               ; =>This Inner Loop Header: Depth=1
	s_and_not1_b32 vcc_lo, exec_lo, s14
	s_cbranch_vccnz .LBB23_3
; %bb.5:                                ;   in Loop: Header=BB23_4 Depth=1
	s_load_b32 s26, s[0:1], 0xc
	s_wait_kmcnt 0x0
	s_and_b32 s26, s26, 0xffff
	s_delay_alu instid0(SALU_CYCLE_1) | instskip(SKIP_1) | instid1(VALU_DEP_1)
	v_mad_nc_u64_u32 v[2:3], s26, s15, v[0:1]
	s_mov_b32 s26, exec_lo
	v_cmpx_gt_u64_e64 s[20:21], v[2:3]
	s_cbranch_execz .LBB23_2
; %bb.6:                                ;   in Loop: Header=BB23_4 Depth=1
	v_not_b32_e32 v3, v3
	v_not_b32_e32 v2, v2
	s_mul_u64 s[28:29], s[10:11], s[2:3]
	v_mov_b64_e32 v[12:13], s[22:23]
	s_lshl_b64 s[28:29], s[28:29], 3
	s_delay_alu instid0(VALU_DEP_2) | instskip(SKIP_1) | instid1(VALU_DEP_1)
	v_add_nc_u64_e32 v[2:3], s[20:21], v[2:3]
	s_add_nc_u64 s[28:29], s[4:5], s[28:29]
	v_lshlrev_b64_e32 v[4:5], 3, v[2:3]
	v_sub_nc_u32_e32 v2, s25, v2
	s_delay_alu instid0(VALU_DEP_2) | instskip(NEXT) | instid1(VALU_DEP_3)
	v_cvt_f64_u32_e32 v[6:7], v5
	v_or_b32_e32 v3, 1, v4
	s_delay_alu instid0(VALU_DEP_1) | instskip(NEXT) | instid1(VALU_DEP_3)
	v_cvt_f64_u32_e32 v[4:5], v3
	v_ldexp_f64 v[6:7], v[6:7], 32
	s_delay_alu instid0(VALU_DEP_1) | instskip(NEXT) | instid1(VALU_DEP_1)
	v_add_f64_e32 v[4:5], v[6:7], v[4:5]
	v_cmp_gt_f64_e32 vcc_lo, 0x10000000, v[4:5]
	v_cndmask_b32_e64 v3, 0, 0x100, vcc_lo
	s_delay_alu instid0(VALU_DEP_1) | instskip(SKIP_1) | instid1(VALU_DEP_2)
	v_ldexp_f64 v[4:5], v[4:5], v3
	v_cndmask_b32_e64 v3, 0, 0xffffff80, vcc_lo
	v_rsq_f64_e32 v[6:7], v[4:5]
	v_cmp_class_f64_e64 vcc_lo, v[4:5], 0x260
	s_delay_alu instid0(TRANS32_DEP_1) | instskip(SKIP_1) | instid1(VALU_DEP_1)
	v_mul_f64_e32 v[8:9], v[4:5], v[6:7]
	v_mul_f64_e32 v[6:7], 0.5, v[6:7]
	v_fma_f64 v[10:11], -v[6:7], v[8:9], 0.5
	s_delay_alu instid0(VALU_DEP_1) | instskip(SKIP_1) | instid1(VALU_DEP_2)
	v_fmac_f64_e32 v[8:9], v[8:9], v[10:11]
	v_fmac_f64_e32 v[6:7], v[6:7], v[10:11]
	v_fma_f64 v[10:11], -v[8:9], v[8:9], v[4:5]
	s_delay_alu instid0(VALU_DEP_1) | instskip(NEXT) | instid1(VALU_DEP_1)
	v_fmac_f64_e32 v[8:9], v[10:11], v[6:7]
	v_fma_f64 v[10:11], -v[8:9], v[8:9], v[4:5]
	s_delay_alu instid0(VALU_DEP_1) | instskip(SKIP_1) | instid1(VALU_DEP_2)
	v_fmac_f64_e32 v[8:9], v[10:11], v[6:7]
	v_mov_b64_e32 v[10:11], s[6:7]
	v_ldexp_f64 v[6:7], v[8:9], v3
	s_delay_alu instid0(VALU_DEP_1) | instskip(NEXT) | instid1(VALU_DEP_1)
	v_dual_cndmask_b32 v5, v7, v5 :: v_dual_cndmask_b32 v4, v6, v4
	v_add_f64_e32 v[4:5], -1.0, v[4:5]
	s_delay_alu instid0(VALU_DEP_1) | instskip(NEXT) | instid1(VALU_DEP_1)
	v_mul_f64_e32 v[4:5], 0.5, v[4:5]
	v_cvt_i32_f64_e32 v4, v[4:5]
	s_delay_alu instid0(VALU_DEP_1) | instskip(NEXT) | instid1(VALU_DEP_1)
	v_mad_u32 v3, v4, v4, v4
	v_dual_sub_nc_u32 v4, s25, v4 :: v_dual_lshrrev_b32 v5, 31, v3
	s_delay_alu instid0(VALU_DEP_1) | instskip(NEXT) | instid1(VALU_DEP_1)
	v_dual_add_nc_u32 v3, v3, v5 :: v_dual_ashrrev_i32 v5, 31, v4
	v_ashrrev_i32_e32 v3, 1, v3
	s_delay_alu instid0(VALU_DEP_2) | instskip(NEXT) | instid1(VALU_DEP_2)
	v_mul_u64_e32 v[8:9], s[8:9], v[4:5]
	v_add_nc_u32_e32 v2, v2, v3
	s_delay_alu instid0(VALU_DEP_1) | instskip(NEXT) | instid1(VALU_DEP_1)
	v_ashrrev_i32_e32 v3, 31, v2
	v_mul_u64_e32 v[6:7], s[8:9], v[2:3]
	s_delay_alu instid0(VALU_DEP_4) | instskip(SKIP_3) | instid1(SALU_CYCLE_1)
	v_lshl_add_u64 v[8:9], v[8:9], 3, s[28:29]
	global_load_b64 v[8:9], v[8:9], off
	v_lshl_add_u64 v[6:7], v[6:7], 3, s[28:29]
	s_mul_u64 s[28:29], s[18:19], s[2:3]
	s_lshl_b64 s[28:29], s[28:29], 3
	global_load_b64 v[6:7], v[6:7], off
	s_add_nc_u64 s[28:29], s[12:13], s[28:29]
	s_wait_loadcnt 0x0
	v_pk_mul_f32 v[10:11], v[6:7], v[10:11]
	s_wait_xcnt 0x0
	v_pk_mul_f32 v[6:7], v[6:7], v[12:13]
	s_delay_alu instid0(VALU_DEP_2) | instskip(NEXT) | instid1(VALU_DEP_2)
	v_add_f32_e32 v10, v10, v11
	v_pk_add_f32 v[6:7], v[6:7], v[6:7] op_sel:[0,1] op_sel_hi:[0,1] neg_lo:[0,1] neg_hi:[0,1]
	s_delay_alu instid0(VALU_DEP_2) | instskip(NEXT) | instid1(VALU_DEP_1)
	v_pk_mul_f32 v[10:11], v[8:9], v[10:11] op_sel:[1,0] op_sel_hi:[0,0]
	v_pk_fma_f32 v[12:13], v[8:9], v[6:7], v[10:11]
	v_pk_fma_f32 v[6:7], v[8:9], v[6:7], v[10:11] neg_lo:[0,0,1] neg_hi:[0,0,1]
	s_delay_alu instid0(VALU_DEP_2) | instskip(SKIP_1) | instid1(VALU_DEP_1)
	v_mov_b32_e32 v7, v13
	v_mul_u64_e32 v[4:5], s[16:17], v[4:5]
	v_lshl_add_u64 v[4:5], v[4:5], 3, s[28:29]
	s_delay_alu instid0(VALU_DEP_1)
	v_lshl_add_u64 v[2:3], v[2:3], 3, v[4:5]
	global_load_b64 v[4:5], v[2:3], off
	s_wait_loadcnt 0x0
	v_pk_add_f32 v[4:5], v[4:5], v[6:7]
	global_store_b64 v[2:3], v[4:5], off
	s_branch .LBB23_2
.LBB23_7:
	s_endpgm
	.section	.rodata,"a",@progbits
	.p2align	6, 0x0
	.amdhsa_kernel _ZL18rocblas_syr_kernelILb0ELi1024E19rocblas_complex_numIfES1_PKS1_PS1_EvimT2_lT3_lllT4_llli
		.amdhsa_group_segment_fixed_size 0
		.amdhsa_private_segment_fixed_size 0
		.amdhsa_kernarg_size 360
		.amdhsa_user_sgpr_count 2
		.amdhsa_user_sgpr_dispatch_ptr 0
		.amdhsa_user_sgpr_queue_ptr 0
		.amdhsa_user_sgpr_kernarg_segment_ptr 1
		.amdhsa_user_sgpr_dispatch_id 0
		.amdhsa_user_sgpr_kernarg_preload_length 0
		.amdhsa_user_sgpr_kernarg_preload_offset 0
		.amdhsa_user_sgpr_private_segment_size 0
		.amdhsa_wavefront_size32 1
		.amdhsa_uses_dynamic_stack 0
		.amdhsa_enable_private_segment 0
		.amdhsa_system_sgpr_workgroup_id_x 1
		.amdhsa_system_sgpr_workgroup_id_y 0
		.amdhsa_system_sgpr_workgroup_id_z 1
		.amdhsa_system_sgpr_workgroup_info 0
		.amdhsa_system_vgpr_workitem_id 0
		.amdhsa_next_free_vgpr 14
		.amdhsa_next_free_sgpr 31
		.amdhsa_named_barrier_count 0
		.amdhsa_reserve_vcc 1
		.amdhsa_float_round_mode_32 0
		.amdhsa_float_round_mode_16_64 0
		.amdhsa_float_denorm_mode_32 3
		.amdhsa_float_denorm_mode_16_64 3
		.amdhsa_fp16_overflow 0
		.amdhsa_memory_ordered 1
		.amdhsa_forward_progress 1
		.amdhsa_inst_pref_size 7
		.amdhsa_round_robin_scheduling 0
		.amdhsa_exception_fp_ieee_invalid_op 0
		.amdhsa_exception_fp_denorm_src 0
		.amdhsa_exception_fp_ieee_div_zero 0
		.amdhsa_exception_fp_ieee_overflow 0
		.amdhsa_exception_fp_ieee_underflow 0
		.amdhsa_exception_fp_ieee_inexact 0
		.amdhsa_exception_int_div_zero 0
	.end_amdhsa_kernel
	.section	.text._ZL18rocblas_syr_kernelILb0ELi1024E19rocblas_complex_numIfES1_PKS1_PS1_EvimT2_lT3_lllT4_llli,"axG",@progbits,_ZL18rocblas_syr_kernelILb0ELi1024E19rocblas_complex_numIfES1_PKS1_PS1_EvimT2_lT3_lllT4_llli,comdat
.Lfunc_end23:
	.size	_ZL18rocblas_syr_kernelILb0ELi1024E19rocblas_complex_numIfES1_PKS1_PS1_EvimT2_lT3_lllT4_llli, .Lfunc_end23-_ZL18rocblas_syr_kernelILb0ELi1024E19rocblas_complex_numIfES1_PKS1_PS1_EvimT2_lT3_lllT4_llli
                                        ; -- End function
	.set _ZL18rocblas_syr_kernelILb0ELi1024E19rocblas_complex_numIfES1_PKS1_PS1_EvimT2_lT3_lllT4_llli.num_vgpr, 14
	.set _ZL18rocblas_syr_kernelILb0ELi1024E19rocblas_complex_numIfES1_PKS1_PS1_EvimT2_lT3_lllT4_llli.num_agpr, 0
	.set _ZL18rocblas_syr_kernelILb0ELi1024E19rocblas_complex_numIfES1_PKS1_PS1_EvimT2_lT3_lllT4_llli.numbered_sgpr, 31
	.set _ZL18rocblas_syr_kernelILb0ELi1024E19rocblas_complex_numIfES1_PKS1_PS1_EvimT2_lT3_lllT4_llli.num_named_barrier, 0
	.set _ZL18rocblas_syr_kernelILb0ELi1024E19rocblas_complex_numIfES1_PKS1_PS1_EvimT2_lT3_lllT4_llli.private_seg_size, 0
	.set _ZL18rocblas_syr_kernelILb0ELi1024E19rocblas_complex_numIfES1_PKS1_PS1_EvimT2_lT3_lllT4_llli.uses_vcc, 1
	.set _ZL18rocblas_syr_kernelILb0ELi1024E19rocblas_complex_numIfES1_PKS1_PS1_EvimT2_lT3_lllT4_llli.uses_flat_scratch, 0
	.set _ZL18rocblas_syr_kernelILb0ELi1024E19rocblas_complex_numIfES1_PKS1_PS1_EvimT2_lT3_lllT4_llli.has_dyn_sized_stack, 0
	.set _ZL18rocblas_syr_kernelILb0ELi1024E19rocblas_complex_numIfES1_PKS1_PS1_EvimT2_lT3_lllT4_llli.has_recursion, 0
	.set _ZL18rocblas_syr_kernelILb0ELi1024E19rocblas_complex_numIfES1_PKS1_PS1_EvimT2_lT3_lllT4_llli.has_indirect_call, 0
	.section	.AMDGPU.csdata,"",@progbits
; Kernel info:
; codeLenInByte = 792
; TotalNumSgprs: 33
; NumVgprs: 14
; ScratchSize: 0
; MemoryBound: 0
; FloatMode: 240
; IeeeMode: 1
; LDSByteSize: 0 bytes/workgroup (compile time only)
; SGPRBlocks: 0
; VGPRBlocks: 0
; NumSGPRsForWavesPerEU: 33
; NumVGPRsForWavesPerEU: 14
; NamedBarCnt: 0
; Occupancy: 16
; WaveLimiterHint : 0
; COMPUTE_PGM_RSRC2:SCRATCH_EN: 0
; COMPUTE_PGM_RSRC2:USER_SGPR: 2
; COMPUTE_PGM_RSRC2:TRAP_HANDLER: 0
; COMPUTE_PGM_RSRC2:TGID_X_EN: 1
; COMPUTE_PGM_RSRC2:TGID_Y_EN: 0
; COMPUTE_PGM_RSRC2:TGID_Z_EN: 1
; COMPUTE_PGM_RSRC2:TIDIG_COMP_CNT: 0
	.section	.text._ZL23rocblas_syr_kernel_inc1ILb1ELi1024E19rocblas_complex_numIdEPKS1_S3_PS1_EvimT2_lT3_llT4_llli,"axG",@progbits,_ZL23rocblas_syr_kernel_inc1ILb1ELi1024E19rocblas_complex_numIdEPKS1_S3_PS1_EvimT2_lT3_llT4_llli,comdat
	.globl	_ZL23rocblas_syr_kernel_inc1ILb1ELi1024E19rocblas_complex_numIdEPKS1_S3_PS1_EvimT2_lT3_llT4_llli ; -- Begin function _ZL23rocblas_syr_kernel_inc1ILb1ELi1024E19rocblas_complex_numIdEPKS1_S3_PS1_EvimT2_lT3_llT4_llli
	.p2align	8
	.type	_ZL23rocblas_syr_kernel_inc1ILb1ELi1024E19rocblas_complex_numIdEPKS1_S3_PS1_EvimT2_lT3_llT4_llli,@function
_ZL23rocblas_syr_kernel_inc1ILb1ELi1024E19rocblas_complex_numIdEPKS1_S3_PS1_EvimT2_lT3_llT4_llli: ; @_ZL23rocblas_syr_kernel_inc1ILb1ELi1024E19rocblas_complex_numIdEPKS1_S3_PS1_EvimT2_lT3_llT4_llli
; %bb.0:
	s_load_b32 s24, s[0:1], 0x58
	s_bfe_u32 s2, ttmp6, 0x40014
	s_lshr_b32 s3, ttmp7, 16
	s_add_co_i32 s2, s2, 1
	s_bfe_u32 s4, ttmp6, 0x40008
	s_mul_i32 s2, s3, s2
	s_getreg_b32 s25, hwreg(HW_REG_IB_STS2, 6, 4)
	s_add_co_i32 s4, s4, s2
	s_cmp_eq_u32 s25, 0
	s_cselect_b32 s2, s3, s4
	s_mov_b32 s3, 0
	s_wait_kmcnt 0x0
	s_cmp_ge_u32 s2, s24
	s_cbranch_scc1 .LBB24_7
; %bb.1:
	s_clause 0x1
	s_load_b512 s[4:19], s[0:1], 0x8
	s_load_b128 s[20:23], s[0:1], 0x48
	s_bfe_u32 s26, ttmp6, 0x4000c
	s_and_b32 s27, ttmp6, 15
	s_add_co_i32 s26, s26, 1
	v_mov_b32_e32 v1, 0
	s_mul_i32 s26, ttmp9, s26
	s_delay_alu instid0(SALU_CYCLE_1)
	s_add_co_i32 s28, s27, s26
	s_wait_kmcnt 0x0
	s_lshl_b64 s[18:19], s[18:19], 4
	s_lshl_b64 s[26:27], s[12:13], 4
	s_cmp_eq_u32 s25, 0
	s_add_nc_u64 s[12:13], s[16:17], s[18:19]
	s_add_nc_u64 s[10:11], s[10:11], s[26:27]
	s_cselect_b32 s18, ttmp9, s28
	s_add_nc_u64 s[16:17], s[0:1], 0x60
	s_branch .LBB24_4
.LBB24_2:                               ;   in Loop: Header=BB24_4 Depth=1
	s_wait_xcnt 0x0
	s_or_b32 exec_lo, exec_lo, s0
.LBB24_3:                               ;   in Loop: Header=BB24_4 Depth=1
	s_add_co_i32 s2, s2, 0x10000
	s_delay_alu instid0(SALU_CYCLE_1)
	s_cmp_lt_u32 s2, s24
	s_cbranch_scc0 .LBB24_7
.LBB24_4:                               ; =>This Inner Loop Header: Depth=1
	s_mul_u64 s[0:1], s[8:9], s[2:3]
	s_delay_alu instid0(SALU_CYCLE_1) | instskip(NEXT) | instid1(SALU_CYCLE_1)
	s_lshl_b64 s[0:1], s[0:1], 4
	s_add_nc_u64 s[0:1], s[6:7], s[0:1]
	global_load_b128 v[2:5], v1, s[0:1]
	s_wait_loadcnt 0x0
	v_cmp_neq_f64_e32 vcc_lo, 0, v[2:3]
	s_wait_xcnt 0x0
	v_cmp_neq_f64_e64 s0, 0, v[4:5]
	s_or_b32 s0, vcc_lo, s0
	s_delay_alu instid0(SALU_CYCLE_1)
	s_and_not1_b32 vcc_lo, exec_lo, s0
	s_cbranch_vccnz .LBB24_3
; %bb.5:                                ;   in Loop: Header=BB24_4 Depth=1
	s_load_b32 s0, s[16:17], 0xc
	s_wait_kmcnt 0x0
	s_and_b32 s0, s0, 0xffff
	s_delay_alu instid0(SALU_CYCLE_1) | instskip(SKIP_1) | instid1(VALU_DEP_1)
	v_mad_nc_u64_u32 v[6:7], s0, s18, v[0:1]
	s_mov_b32 s0, exec_lo
	v_cmpx_gt_u64_e64 s[4:5], v[6:7]
	s_cbranch_execz .LBB24_2
; %bb.6:                                ;   in Loop: Header=BB24_4 Depth=1
	v_lshlrev_b64_e32 v[8:9], 3, v[6:7]
	s_mul_u64 s[26:27], s[14:15], s[2:3]
	s_delay_alu instid0(SALU_CYCLE_1) | instskip(NEXT) | instid1(SALU_CYCLE_1)
	s_lshl_b64 s[26:27], s[26:27], 4
	s_add_nc_u64 s[26:27], s[10:11], s[26:27]
	s_delay_alu instid0(VALU_DEP_1) | instskip(NEXT) | instid1(VALU_DEP_2)
	v_cvt_f64_u32_e32 v[10:11], v9
	v_or_b32_e32 v7, 1, v8
	s_delay_alu instid0(VALU_DEP_1) | instskip(NEXT) | instid1(VALU_DEP_3)
	v_cvt_f64_u32_e32 v[8:9], v7
	v_ldexp_f64 v[10:11], v[10:11], 32
	s_delay_alu instid0(VALU_DEP_1) | instskip(NEXT) | instid1(VALU_DEP_1)
	v_add_f64_e32 v[8:9], v[10:11], v[8:9]
	v_cmp_gt_f64_e32 vcc_lo, 0x10000000, v[8:9]
	v_cndmask_b32_e64 v7, 0, 0x100, vcc_lo
	s_delay_alu instid0(VALU_DEP_1) | instskip(SKIP_1) | instid1(VALU_DEP_2)
	v_ldexp_f64 v[8:9], v[8:9], v7
	v_cndmask_b32_e64 v7, 0, 0xffffff80, vcc_lo
	v_rsq_f64_e32 v[10:11], v[8:9]
	v_cmp_class_f64_e64 vcc_lo, v[8:9], 0x260
	s_delay_alu instid0(TRANS32_DEP_1) | instskip(SKIP_1) | instid1(VALU_DEP_1)
	v_mul_f64_e32 v[12:13], v[8:9], v[10:11]
	v_mul_f64_e32 v[10:11], 0.5, v[10:11]
	v_fma_f64 v[14:15], -v[10:11], v[12:13], 0.5
	s_delay_alu instid0(VALU_DEP_1) | instskip(SKIP_1) | instid1(VALU_DEP_2)
	v_fmac_f64_e32 v[12:13], v[12:13], v[14:15]
	v_fmac_f64_e32 v[10:11], v[10:11], v[14:15]
	v_fma_f64 v[14:15], -v[12:13], v[12:13], v[8:9]
	s_delay_alu instid0(VALU_DEP_1) | instskip(NEXT) | instid1(VALU_DEP_1)
	v_fmac_f64_e32 v[12:13], v[14:15], v[10:11]
	v_fma_f64 v[14:15], -v[12:13], v[12:13], v[8:9]
	s_delay_alu instid0(VALU_DEP_1) | instskip(NEXT) | instid1(VALU_DEP_1)
	v_fmac_f64_e32 v[12:13], v[14:15], v[10:11]
	v_ldexp_f64 v[10:11], v[12:13], v7
	s_delay_alu instid0(VALU_DEP_1) | instskip(NEXT) | instid1(VALU_DEP_1)
	v_dual_cndmask_b32 v9, v11, v9 :: v_dual_cndmask_b32 v8, v10, v8
	v_add_f64_e32 v[8:9], -1.0, v[8:9]
	s_delay_alu instid0(VALU_DEP_1) | instskip(NEXT) | instid1(VALU_DEP_1)
	v_mul_f64_e32 v[8:9], 0.5, v[8:9]
	v_cvt_i32_f64_e32 v14, v[8:9]
	s_delay_alu instid0(VALU_DEP_1) | instskip(NEXT) | instid1(VALU_DEP_1)
	v_mad_u32 v7, v14, v14, v14
	v_dual_ashrrev_i32 v15, 31, v14 :: v_dual_lshrrev_b32 v8, 31, v7
	s_delay_alu instid0(VALU_DEP_1) | instskip(NEXT) | instid1(VALU_DEP_1)
	v_add_nc_u32_e32 v7, v7, v8
	v_ashrrev_i32_e32 v7, 1, v7
	s_delay_alu instid0(VALU_DEP_1)
	v_sub_nc_u32_e32 v16, v6, v7
	s_clause 0x1
	global_load_b128 v[6:9], v16, s[26:27] scale_offset
	global_load_b128 v[10:13], v14, s[26:27] scale_offset
	s_wait_xcnt 0x0
	v_mul_u64_e32 v[14:15], s[20:21], v[14:15]
	s_mul_u64 s[26:27], s[22:23], s[2:3]
	s_delay_alu instid0(SALU_CYCLE_1) | instskip(NEXT) | instid1(SALU_CYCLE_1)
	s_lshl_b64 s[26:27], s[26:27], 4
	s_add_nc_u64 s[26:27], s[12:13], s[26:27]
	s_delay_alu instid0(VALU_DEP_1) | instid1(SALU_CYCLE_1)
	v_lshl_add_u64 v[14:15], v[14:15], 4, s[26:27]
	s_wait_loadcnt 0x1
	v_mul_f64_e32 v[20:21], v[2:3], v[8:9]
	v_mul_f64_e32 v[8:9], v[4:5], v[8:9]
	v_ashrrev_i32_e32 v17, 31, v16
	s_delay_alu instid0(VALU_DEP_3) | instskip(NEXT) | instid1(VALU_DEP_3)
	v_fmac_f64_e32 v[20:21], v[4:5], v[6:7]
	v_fma_f64 v[2:3], v[2:3], v[6:7], -v[8:9]
	s_delay_alu instid0(VALU_DEP_3) | instskip(SKIP_4) | instid1(VALU_DEP_2)
	v_lshl_add_u64 v[18:19], v[16:17], 4, v[14:15]
	global_load_b128 v[14:17], v[18:19], off
	s_wait_loadcnt 0x1
	v_mul_f64_e32 v[4:5], v[12:13], v[20:21]
	v_mul_f64_e32 v[6:7], v[10:11], v[20:21]
	v_fma_f64 v[4:5], v[10:11], v[2:3], -v[4:5]
	s_delay_alu instid0(VALU_DEP_2) | instskip(SKIP_1) | instid1(VALU_DEP_2)
	v_fmac_f64_e32 v[6:7], v[12:13], v[2:3]
	s_wait_loadcnt 0x0
	v_add_f64_e32 v[2:3], v[14:15], v[4:5]
	s_delay_alu instid0(VALU_DEP_2)
	v_add_f64_e32 v[4:5], v[6:7], v[16:17]
	global_store_b128 v[18:19], v[2:5], off
	s_branch .LBB24_2
.LBB24_7:
	s_endpgm
	.section	.rodata,"a",@progbits
	.p2align	6, 0x0
	.amdhsa_kernel _ZL23rocblas_syr_kernel_inc1ILb1ELi1024E19rocblas_complex_numIdEPKS1_S3_PS1_EvimT2_lT3_llT4_llli
		.amdhsa_group_segment_fixed_size 0
		.amdhsa_private_segment_fixed_size 0
		.amdhsa_kernarg_size 352
		.amdhsa_user_sgpr_count 2
		.amdhsa_user_sgpr_dispatch_ptr 0
		.amdhsa_user_sgpr_queue_ptr 0
		.amdhsa_user_sgpr_kernarg_segment_ptr 1
		.amdhsa_user_sgpr_dispatch_id 0
		.amdhsa_user_sgpr_kernarg_preload_length 0
		.amdhsa_user_sgpr_kernarg_preload_offset 0
		.amdhsa_user_sgpr_private_segment_size 0
		.amdhsa_wavefront_size32 1
		.amdhsa_uses_dynamic_stack 0
		.amdhsa_enable_private_segment 0
		.amdhsa_system_sgpr_workgroup_id_x 1
		.amdhsa_system_sgpr_workgroup_id_y 0
		.amdhsa_system_sgpr_workgroup_id_z 1
		.amdhsa_system_sgpr_workgroup_info 0
		.amdhsa_system_vgpr_workitem_id 0
		.amdhsa_next_free_vgpr 22
		.amdhsa_next_free_sgpr 29
		.amdhsa_named_barrier_count 0
		.amdhsa_reserve_vcc 1
		.amdhsa_float_round_mode_32 0
		.amdhsa_float_round_mode_16_64 0
		.amdhsa_float_denorm_mode_32 3
		.amdhsa_float_denorm_mode_16_64 3
		.amdhsa_fp16_overflow 0
		.amdhsa_memory_ordered 1
		.amdhsa_forward_progress 1
		.amdhsa_inst_pref_size 6
		.amdhsa_round_robin_scheduling 0
		.amdhsa_exception_fp_ieee_invalid_op 0
		.amdhsa_exception_fp_denorm_src 0
		.amdhsa_exception_fp_ieee_div_zero 0
		.amdhsa_exception_fp_ieee_overflow 0
		.amdhsa_exception_fp_ieee_underflow 0
		.amdhsa_exception_fp_ieee_inexact 0
		.amdhsa_exception_int_div_zero 0
	.end_amdhsa_kernel
	.section	.text._ZL23rocblas_syr_kernel_inc1ILb1ELi1024E19rocblas_complex_numIdEPKS1_S3_PS1_EvimT2_lT3_llT4_llli,"axG",@progbits,_ZL23rocblas_syr_kernel_inc1ILb1ELi1024E19rocblas_complex_numIdEPKS1_S3_PS1_EvimT2_lT3_llT4_llli,comdat
.Lfunc_end24:
	.size	_ZL23rocblas_syr_kernel_inc1ILb1ELi1024E19rocblas_complex_numIdEPKS1_S3_PS1_EvimT2_lT3_llT4_llli, .Lfunc_end24-_ZL23rocblas_syr_kernel_inc1ILb1ELi1024E19rocblas_complex_numIdEPKS1_S3_PS1_EvimT2_lT3_llT4_llli
                                        ; -- End function
	.set _ZL23rocblas_syr_kernel_inc1ILb1ELi1024E19rocblas_complex_numIdEPKS1_S3_PS1_EvimT2_lT3_llT4_llli.num_vgpr, 22
	.set _ZL23rocblas_syr_kernel_inc1ILb1ELi1024E19rocblas_complex_numIdEPKS1_S3_PS1_EvimT2_lT3_llT4_llli.num_agpr, 0
	.set _ZL23rocblas_syr_kernel_inc1ILb1ELi1024E19rocblas_complex_numIdEPKS1_S3_PS1_EvimT2_lT3_llT4_llli.numbered_sgpr, 29
	.set _ZL23rocblas_syr_kernel_inc1ILb1ELi1024E19rocblas_complex_numIdEPKS1_S3_PS1_EvimT2_lT3_llT4_llli.num_named_barrier, 0
	.set _ZL23rocblas_syr_kernel_inc1ILb1ELi1024E19rocblas_complex_numIdEPKS1_S3_PS1_EvimT2_lT3_llT4_llli.private_seg_size, 0
	.set _ZL23rocblas_syr_kernel_inc1ILb1ELi1024E19rocblas_complex_numIdEPKS1_S3_PS1_EvimT2_lT3_llT4_llli.uses_vcc, 1
	.set _ZL23rocblas_syr_kernel_inc1ILb1ELi1024E19rocblas_complex_numIdEPKS1_S3_PS1_EvimT2_lT3_llT4_llli.uses_flat_scratch, 0
	.set _ZL23rocblas_syr_kernel_inc1ILb1ELi1024E19rocblas_complex_numIdEPKS1_S3_PS1_EvimT2_lT3_llT4_llli.has_dyn_sized_stack, 0
	.set _ZL23rocblas_syr_kernel_inc1ILb1ELi1024E19rocblas_complex_numIdEPKS1_S3_PS1_EvimT2_lT3_llT4_llli.has_recursion, 0
	.set _ZL23rocblas_syr_kernel_inc1ILb1ELi1024E19rocblas_complex_numIdEPKS1_S3_PS1_EvimT2_lT3_llT4_llli.has_indirect_call, 0
	.section	.AMDGPU.csdata,"",@progbits
; Kernel info:
; codeLenInByte = 744
; TotalNumSgprs: 31
; NumVgprs: 22
; ScratchSize: 0
; MemoryBound: 0
; FloatMode: 240
; IeeeMode: 1
; LDSByteSize: 0 bytes/workgroup (compile time only)
; SGPRBlocks: 0
; VGPRBlocks: 1
; NumSGPRsForWavesPerEU: 31
; NumVGPRsForWavesPerEU: 22
; NamedBarCnt: 0
; Occupancy: 16
; WaveLimiterHint : 0
; COMPUTE_PGM_RSRC2:SCRATCH_EN: 0
; COMPUTE_PGM_RSRC2:USER_SGPR: 2
; COMPUTE_PGM_RSRC2:TRAP_HANDLER: 0
; COMPUTE_PGM_RSRC2:TGID_X_EN: 1
; COMPUTE_PGM_RSRC2:TGID_Y_EN: 0
; COMPUTE_PGM_RSRC2:TGID_Z_EN: 1
; COMPUTE_PGM_RSRC2:TIDIG_COMP_CNT: 0
	.section	.text._ZL18rocblas_syr_kernelILb1ELi1024E19rocblas_complex_numIdEPKS1_S3_PS1_EvimT2_lT3_lllT4_llli,"axG",@progbits,_ZL18rocblas_syr_kernelILb1ELi1024E19rocblas_complex_numIdEPKS1_S3_PS1_EvimT2_lT3_lllT4_llli,comdat
	.globl	_ZL18rocblas_syr_kernelILb1ELi1024E19rocblas_complex_numIdEPKS1_S3_PS1_EvimT2_lT3_lllT4_llli ; -- Begin function _ZL18rocblas_syr_kernelILb1ELi1024E19rocblas_complex_numIdEPKS1_S3_PS1_EvimT2_lT3_lllT4_llli
	.p2align	8
	.type	_ZL18rocblas_syr_kernelILb1ELi1024E19rocblas_complex_numIdEPKS1_S3_PS1_EvimT2_lT3_lllT4_llli,@function
_ZL18rocblas_syr_kernelILb1ELi1024E19rocblas_complex_numIdEPKS1_S3_PS1_EvimT2_lT3_lllT4_llli: ; @_ZL18rocblas_syr_kernelILb1ELi1024E19rocblas_complex_numIdEPKS1_S3_PS1_EvimT2_lT3_lllT4_llli
; %bb.0:
	s_load_b32 s26, s[0:1], 0x60
	s_bfe_u32 s2, ttmp6, 0x40014
	s_lshr_b32 s3, ttmp7, 16
	s_add_co_i32 s2, s2, 1
	s_bfe_u32 s4, ttmp6, 0x40008
	s_mul_i32 s2, s3, s2
	s_getreg_b32 s27, hwreg(HW_REG_IB_STS2, 6, 4)
	s_add_co_i32 s4, s4, s2
	s_cmp_eq_u32 s27, 0
	s_cselect_b32 s2, s3, s4
	s_mov_b32 s3, 0
	s_wait_kmcnt 0x0
	s_cmp_ge_u32 s2, s26
	s_cbranch_scc1 .LBB25_7
; %bb.1:
	s_clause 0x2
	s_load_b128 s[20:23], s[0:1], 0x48
	s_load_b512 s[4:19], s[0:1], 0x8
	s_load_b64 s[24:25], s[0:1], 0x58
	s_bfe_u32 s28, ttmp6, 0x4000c
	s_and_b32 s29, ttmp6, 15
	s_add_co_i32 s28, s28, 1
	v_mov_b32_e32 v1, 0
	s_mul_i32 s28, ttmp9, s28
	s_delay_alu instid0(SALU_CYCLE_1)
	s_add_co_i32 s30, s29, s28
	s_wait_kmcnt 0x0
	s_lshl_b64 s[20:21], s[20:21], 4
	s_lshl_b64 s[28:29], s[12:13], 4
	s_cmp_eq_u32 s27, 0
	s_add_nc_u64 s[12:13], s[18:19], s[20:21]
	s_add_nc_u64 s[10:11], s[10:11], s[28:29]
	s_cselect_b32 s20, ttmp9, s30
	s_add_nc_u64 s[18:19], s[0:1], 0x68
	s_branch .LBB25_4
.LBB25_2:                               ;   in Loop: Header=BB25_4 Depth=1
	s_wait_xcnt 0x0
	s_or_b32 exec_lo, exec_lo, s0
.LBB25_3:                               ;   in Loop: Header=BB25_4 Depth=1
	s_add_co_i32 s2, s2, 0x10000
	s_delay_alu instid0(SALU_CYCLE_1)
	s_cmp_lt_u32 s2, s26
	s_cbranch_scc0 .LBB25_7
.LBB25_4:                               ; =>This Inner Loop Header: Depth=1
	s_mul_u64 s[0:1], s[8:9], s[2:3]
	s_delay_alu instid0(SALU_CYCLE_1) | instskip(NEXT) | instid1(SALU_CYCLE_1)
	s_lshl_b64 s[0:1], s[0:1], 4
	s_add_nc_u64 s[0:1], s[6:7], s[0:1]
	global_load_b128 v[2:5], v1, s[0:1]
	s_wait_loadcnt 0x0
	v_cmp_neq_f64_e32 vcc_lo, 0, v[2:3]
	s_wait_xcnt 0x0
	v_cmp_neq_f64_e64 s0, 0, v[4:5]
	s_or_b32 s0, vcc_lo, s0
	s_delay_alu instid0(SALU_CYCLE_1)
	s_and_not1_b32 vcc_lo, exec_lo, s0
	s_cbranch_vccnz .LBB25_3
; %bb.5:                                ;   in Loop: Header=BB25_4 Depth=1
	s_load_b32 s0, s[18:19], 0xc
	s_wait_kmcnt 0x0
	s_and_b32 s0, s0, 0xffff
	s_delay_alu instid0(SALU_CYCLE_1) | instskip(SKIP_1) | instid1(VALU_DEP_1)
	v_mad_nc_u64_u32 v[6:7], s0, s20, v[0:1]
	s_mov_b32 s0, exec_lo
	v_cmpx_gt_u64_e64 s[4:5], v[6:7]
	s_cbranch_execz .LBB25_2
; %bb.6:                                ;   in Loop: Header=BB25_4 Depth=1
	v_lshlrev_b64_e32 v[8:9], 3, v[6:7]
	s_mul_u64 s[28:29], s[16:17], s[2:3]
	s_delay_alu instid0(SALU_CYCLE_1) | instskip(NEXT) | instid1(SALU_CYCLE_1)
	s_lshl_b64 s[28:29], s[28:29], 4
	s_add_nc_u64 s[28:29], s[10:11], s[28:29]
	s_delay_alu instid0(VALU_DEP_1) | instskip(NEXT) | instid1(VALU_DEP_2)
	v_cvt_f64_u32_e32 v[10:11], v9
	v_or_b32_e32 v7, 1, v8
	s_delay_alu instid0(VALU_DEP_1) | instskip(NEXT) | instid1(VALU_DEP_3)
	v_cvt_f64_u32_e32 v[8:9], v7
	v_ldexp_f64 v[10:11], v[10:11], 32
	s_delay_alu instid0(VALU_DEP_1) | instskip(NEXT) | instid1(VALU_DEP_1)
	v_add_f64_e32 v[8:9], v[10:11], v[8:9]
	v_cmp_gt_f64_e32 vcc_lo, 0x10000000, v[8:9]
	v_cndmask_b32_e64 v7, 0, 0x100, vcc_lo
	s_delay_alu instid0(VALU_DEP_1) | instskip(SKIP_1) | instid1(VALU_DEP_2)
	v_ldexp_f64 v[8:9], v[8:9], v7
	v_cndmask_b32_e64 v7, 0, 0xffffff80, vcc_lo
	v_rsq_f64_e32 v[10:11], v[8:9]
	v_cmp_class_f64_e64 vcc_lo, v[8:9], 0x260
	s_delay_alu instid0(TRANS32_DEP_1) | instskip(SKIP_1) | instid1(VALU_DEP_1)
	v_mul_f64_e32 v[12:13], v[8:9], v[10:11]
	v_mul_f64_e32 v[10:11], 0.5, v[10:11]
	v_fma_f64 v[14:15], -v[10:11], v[12:13], 0.5
	s_delay_alu instid0(VALU_DEP_1) | instskip(SKIP_1) | instid1(VALU_DEP_2)
	v_fmac_f64_e32 v[12:13], v[12:13], v[14:15]
	v_fmac_f64_e32 v[10:11], v[10:11], v[14:15]
	v_fma_f64 v[14:15], -v[12:13], v[12:13], v[8:9]
	s_delay_alu instid0(VALU_DEP_1) | instskip(NEXT) | instid1(VALU_DEP_1)
	v_fmac_f64_e32 v[12:13], v[14:15], v[10:11]
	v_fma_f64 v[14:15], -v[12:13], v[12:13], v[8:9]
	s_delay_alu instid0(VALU_DEP_1) | instskip(NEXT) | instid1(VALU_DEP_1)
	v_fmac_f64_e32 v[12:13], v[14:15], v[10:11]
	v_ldexp_f64 v[10:11], v[12:13], v7
	s_delay_alu instid0(VALU_DEP_1) | instskip(NEXT) | instid1(VALU_DEP_1)
	v_dual_cndmask_b32 v9, v11, v9 :: v_dual_cndmask_b32 v8, v10, v8
	v_add_f64_e32 v[8:9], -1.0, v[8:9]
	s_delay_alu instid0(VALU_DEP_1) | instskip(NEXT) | instid1(VALU_DEP_1)
	v_mul_f64_e32 v[8:9], 0.5, v[8:9]
	v_cvt_i32_f64_e32 v14, v[8:9]
	s_delay_alu instid0(VALU_DEP_1) | instskip(SKIP_1) | instid1(VALU_DEP_1)
	v_mad_u32 v7, v14, v14, v14
	v_ashrrev_i32_e32 v15, 31, v14
	v_mul_u64_e32 v[10:11], s[14:15], v[14:15]
	v_mul_u64_e32 v[14:15], s[22:23], v[14:15]
	s_delay_alu instid0(VALU_DEP_4) | instskip(NEXT) | instid1(VALU_DEP_1)
	v_lshrrev_b32_e32 v8, 31, v7
	v_add_nc_u32_e32 v7, v7, v8
	s_delay_alu instid0(VALU_DEP_1) | instskip(NEXT) | instid1(VALU_DEP_1)
	v_ashrrev_i32_e32 v7, 1, v7
	v_sub_nc_u32_e32 v16, v6, v7
	s_delay_alu instid0(VALU_DEP_1) | instskip(NEXT) | instid1(VALU_DEP_1)
	v_ashrrev_i32_e32 v17, 31, v16
	v_mul_u64_e32 v[6:7], s[14:15], v[16:17]
	v_lshl_add_u64 v[10:11], v[10:11], 4, s[28:29]
	global_load_b128 v[10:13], v[10:11], off
	v_lshl_add_u64 v[6:7], v[6:7], 4, s[28:29]
	s_mul_u64 s[28:29], s[24:25], s[2:3]
	s_delay_alu instid0(SALU_CYCLE_1) | instskip(SKIP_2) | instid1(SALU_CYCLE_1)
	s_lshl_b64 s[28:29], s[28:29], 4
	global_load_b128 v[6:9], v[6:7], off
	s_add_nc_u64 s[28:29], s[12:13], s[28:29]
	v_lshl_add_u64 v[14:15], v[14:15], 4, s[28:29]
	s_wait_loadcnt 0x0
	v_mul_f64_e32 v[20:21], v[2:3], v[8:9]
	v_mul_f64_e32 v[8:9], v[4:5], v[8:9]
	s_delay_alu instid0(VALU_DEP_2) | instskip(NEXT) | instid1(VALU_DEP_2)
	v_fmac_f64_e32 v[20:21], v[4:5], v[6:7]
	v_fma_f64 v[2:3], v[2:3], v[6:7], -v[8:9]
	v_lshl_add_u64 v[18:19], v[16:17], 4, v[14:15]
	global_load_b128 v[14:17], v[18:19], off
	v_mul_f64_e32 v[4:5], v[12:13], v[20:21]
	s_wait_xcnt 0x1
	v_mul_f64_e32 v[6:7], v[10:11], v[20:21]
	s_delay_alu instid0(VALU_DEP_2) | instskip(NEXT) | instid1(VALU_DEP_2)
	v_fma_f64 v[4:5], v[10:11], v[2:3], -v[4:5]
	v_fmac_f64_e32 v[6:7], v[12:13], v[2:3]
	s_wait_loadcnt 0x0
	s_delay_alu instid0(VALU_DEP_2) | instskip(NEXT) | instid1(VALU_DEP_2)
	v_add_f64_e32 v[2:3], v[14:15], v[4:5]
	v_add_f64_e32 v[4:5], v[6:7], v[16:17]
	global_store_b128 v[18:19], v[2:5], off
	s_branch .LBB25_2
.LBB25_7:
	s_endpgm
	.section	.rodata,"a",@progbits
	.p2align	6, 0x0
	.amdhsa_kernel _ZL18rocblas_syr_kernelILb1ELi1024E19rocblas_complex_numIdEPKS1_S3_PS1_EvimT2_lT3_lllT4_llli
		.amdhsa_group_segment_fixed_size 0
		.amdhsa_private_segment_fixed_size 0
		.amdhsa_kernarg_size 360
		.amdhsa_user_sgpr_count 2
		.amdhsa_user_sgpr_dispatch_ptr 0
		.amdhsa_user_sgpr_queue_ptr 0
		.amdhsa_user_sgpr_kernarg_segment_ptr 1
		.amdhsa_user_sgpr_dispatch_id 0
		.amdhsa_user_sgpr_kernarg_preload_length 0
		.amdhsa_user_sgpr_kernarg_preload_offset 0
		.amdhsa_user_sgpr_private_segment_size 0
		.amdhsa_wavefront_size32 1
		.amdhsa_uses_dynamic_stack 0
		.amdhsa_enable_private_segment 0
		.amdhsa_system_sgpr_workgroup_id_x 1
		.amdhsa_system_sgpr_workgroup_id_y 0
		.amdhsa_system_sgpr_workgroup_id_z 1
		.amdhsa_system_sgpr_workgroup_info 0
		.amdhsa_system_vgpr_workitem_id 0
		.amdhsa_next_free_vgpr 22
		.amdhsa_next_free_sgpr 31
		.amdhsa_named_barrier_count 0
		.amdhsa_reserve_vcc 1
		.amdhsa_float_round_mode_32 0
		.amdhsa_float_round_mode_16_64 0
		.amdhsa_float_denorm_mode_32 3
		.amdhsa_float_denorm_mode_16_64 3
		.amdhsa_fp16_overflow 0
		.amdhsa_memory_ordered 1
		.amdhsa_forward_progress 1
		.amdhsa_inst_pref_size 6
		.amdhsa_round_robin_scheduling 0
		.amdhsa_exception_fp_ieee_invalid_op 0
		.amdhsa_exception_fp_denorm_src 0
		.amdhsa_exception_fp_ieee_div_zero 0
		.amdhsa_exception_fp_ieee_overflow 0
		.amdhsa_exception_fp_ieee_underflow 0
		.amdhsa_exception_fp_ieee_inexact 0
		.amdhsa_exception_int_div_zero 0
	.end_amdhsa_kernel
	.section	.text._ZL18rocblas_syr_kernelILb1ELi1024E19rocblas_complex_numIdEPKS1_S3_PS1_EvimT2_lT3_lllT4_llli,"axG",@progbits,_ZL18rocblas_syr_kernelILb1ELi1024E19rocblas_complex_numIdEPKS1_S3_PS1_EvimT2_lT3_lllT4_llli,comdat
.Lfunc_end25:
	.size	_ZL18rocblas_syr_kernelILb1ELi1024E19rocblas_complex_numIdEPKS1_S3_PS1_EvimT2_lT3_lllT4_llli, .Lfunc_end25-_ZL18rocblas_syr_kernelILb1ELi1024E19rocblas_complex_numIdEPKS1_S3_PS1_EvimT2_lT3_lllT4_llli
                                        ; -- End function
	.set _ZL18rocblas_syr_kernelILb1ELi1024E19rocblas_complex_numIdEPKS1_S3_PS1_EvimT2_lT3_lllT4_llli.num_vgpr, 22
	.set _ZL18rocblas_syr_kernelILb1ELi1024E19rocblas_complex_numIdEPKS1_S3_PS1_EvimT2_lT3_lllT4_llli.num_agpr, 0
	.set _ZL18rocblas_syr_kernelILb1ELi1024E19rocblas_complex_numIdEPKS1_S3_PS1_EvimT2_lT3_lllT4_llli.numbered_sgpr, 31
	.set _ZL18rocblas_syr_kernelILb1ELi1024E19rocblas_complex_numIdEPKS1_S3_PS1_EvimT2_lT3_lllT4_llli.num_named_barrier, 0
	.set _ZL18rocblas_syr_kernelILb1ELi1024E19rocblas_complex_numIdEPKS1_S3_PS1_EvimT2_lT3_lllT4_llli.private_seg_size, 0
	.set _ZL18rocblas_syr_kernelILb1ELi1024E19rocblas_complex_numIdEPKS1_S3_PS1_EvimT2_lT3_lllT4_llli.uses_vcc, 1
	.set _ZL18rocblas_syr_kernelILb1ELi1024E19rocblas_complex_numIdEPKS1_S3_PS1_EvimT2_lT3_lllT4_llli.uses_flat_scratch, 0
	.set _ZL18rocblas_syr_kernelILb1ELi1024E19rocblas_complex_numIdEPKS1_S3_PS1_EvimT2_lT3_lllT4_llli.has_dyn_sized_stack, 0
	.set _ZL18rocblas_syr_kernelILb1ELi1024E19rocblas_complex_numIdEPKS1_S3_PS1_EvimT2_lT3_lllT4_llli.has_recursion, 0
	.set _ZL18rocblas_syr_kernelILb1ELi1024E19rocblas_complex_numIdEPKS1_S3_PS1_EvimT2_lT3_lllT4_llli.has_indirect_call, 0
	.section	.AMDGPU.csdata,"",@progbits
; Kernel info:
; codeLenInByte = 760
; TotalNumSgprs: 33
; NumVgprs: 22
; ScratchSize: 0
; MemoryBound: 0
; FloatMode: 240
; IeeeMode: 1
; LDSByteSize: 0 bytes/workgroup (compile time only)
; SGPRBlocks: 0
; VGPRBlocks: 1
; NumSGPRsForWavesPerEU: 33
; NumVGPRsForWavesPerEU: 22
; NamedBarCnt: 0
; Occupancy: 16
; WaveLimiterHint : 0
; COMPUTE_PGM_RSRC2:SCRATCH_EN: 0
; COMPUTE_PGM_RSRC2:USER_SGPR: 2
; COMPUTE_PGM_RSRC2:TRAP_HANDLER: 0
; COMPUTE_PGM_RSRC2:TGID_X_EN: 1
; COMPUTE_PGM_RSRC2:TGID_Y_EN: 0
; COMPUTE_PGM_RSRC2:TGID_Z_EN: 1
; COMPUTE_PGM_RSRC2:TIDIG_COMP_CNT: 0
	.section	.text._ZL23rocblas_syr_kernel_inc1ILb0ELi1024E19rocblas_complex_numIdEPKS1_S3_PS1_EvimT2_lT3_llT4_llli,"axG",@progbits,_ZL23rocblas_syr_kernel_inc1ILb0ELi1024E19rocblas_complex_numIdEPKS1_S3_PS1_EvimT2_lT3_llT4_llli,comdat
	.globl	_ZL23rocblas_syr_kernel_inc1ILb0ELi1024E19rocblas_complex_numIdEPKS1_S3_PS1_EvimT2_lT3_llT4_llli ; -- Begin function _ZL23rocblas_syr_kernel_inc1ILb0ELi1024E19rocblas_complex_numIdEPKS1_S3_PS1_EvimT2_lT3_llT4_llli
	.p2align	8
	.type	_ZL23rocblas_syr_kernel_inc1ILb0ELi1024E19rocblas_complex_numIdEPKS1_S3_PS1_EvimT2_lT3_llT4_llli,@function
_ZL23rocblas_syr_kernel_inc1ILb0ELi1024E19rocblas_complex_numIdEPKS1_S3_PS1_EvimT2_lT3_llT4_llli: ; @_ZL23rocblas_syr_kernel_inc1ILb0ELi1024E19rocblas_complex_numIdEPKS1_S3_PS1_EvimT2_lT3_llT4_llli
; %bb.0:
	s_load_b32 s28, s[0:1], 0x58
	s_bfe_u32 s2, ttmp6, 0x40014
	s_lshr_b32 s3, ttmp7, 16
	s_add_co_i32 s2, s2, 1
	s_bfe_u32 s4, ttmp6, 0x40008
	s_mul_i32 s2, s3, s2
	s_getreg_b32 s29, hwreg(HW_REG_IB_STS2, 6, 4)
	s_add_co_i32 s4, s4, s2
	s_cmp_eq_u32 s29, 0
	s_cselect_b32 s2, s3, s4
	s_mov_b32 s3, 0
	s_wait_kmcnt 0x0
	s_cmp_ge_u32 s2, s28
	s_cbranch_scc1 .LBB26_7
; %bb.1:
	s_clause 0x2
	s_load_b32 s24, s[0:1], 0x0
	s_load_b512 s[4:19], s[0:1], 0x8
	s_load_b128 s[20:23], s[0:1], 0x48
	s_bfe_u32 s25, ttmp6, 0x4000c
	s_and_b32 s30, ttmp6, 15
	s_add_co_i32 s25, s25, 1
	s_add_nc_u64 s[26:27], s[0:1], 0x60
	s_wait_xcnt 0x0
	s_mul_i32 s0, ttmp9, s25
	v_mov_b32_e32 v1, 0
	s_add_co_i32 s30, s30, s0
	s_wait_kmcnt 0x0
	s_ashr_i32 s25, s24, 31
	s_lshl_b64 s[0:1], s[18:19], 4
	s_lshl_b64 s[18:19], s[12:13], 4
	s_cmp_eq_u32 s29, 0
	s_add_nc_u64 s[12:13], s[16:17], s[0:1]
	s_add_nc_u64 s[10:11], s[10:11], s[18:19]
	s_cselect_b32 s1, ttmp9, s30
	s_add_co_i32 s16, s24, -1
	s_branch .LBB26_4
.LBB26_2:                               ;   in Loop: Header=BB26_4 Depth=1
	s_wait_xcnt 0x0
	s_or_b32 exec_lo, exec_lo, s0
.LBB26_3:                               ;   in Loop: Header=BB26_4 Depth=1
	s_add_co_i32 s2, s2, 0x10000
	s_delay_alu instid0(SALU_CYCLE_1)
	s_cmp_lt_u32 s2, s28
	s_cbranch_scc0 .LBB26_7
.LBB26_4:                               ; =>This Inner Loop Header: Depth=1
	s_wait_xcnt 0x0
	s_mul_u64 s[18:19], s[8:9], s[2:3]
	s_delay_alu instid0(SALU_CYCLE_1) | instskip(NEXT) | instid1(SALU_CYCLE_1)
	s_lshl_b64 s[18:19], s[18:19], 4
	s_add_nc_u64 s[18:19], s[6:7], s[18:19]
	global_load_b128 v[2:5], v1, s[18:19]
	s_wait_loadcnt 0x0
	v_cmp_neq_f64_e32 vcc_lo, 0, v[2:3]
	v_cmp_neq_f64_e64 s0, 0, v[4:5]
	s_or_b32 s0, vcc_lo, s0
	s_delay_alu instid0(SALU_CYCLE_1)
	s_and_not1_b32 vcc_lo, exec_lo, s0
	s_cbranch_vccnz .LBB26_3
; %bb.5:                                ;   in Loop: Header=BB26_4 Depth=1
	s_load_b32 s0, s[26:27], 0xc
	s_wait_kmcnt 0x0
	s_and_b32 s0, s0, 0xffff
	s_delay_alu instid0(SALU_CYCLE_1) | instskip(SKIP_1) | instid1(VALU_DEP_1)
	v_mad_nc_u64_u32 v[6:7], s0, s1, v[0:1]
	s_mov_b32 s0, exec_lo
	v_cmpx_gt_u64_e64 s[4:5], v[6:7]
	s_cbranch_execz .LBB26_2
; %bb.6:                                ;   in Loop: Header=BB26_4 Depth=1
	v_not_b32_e32 v7, v7
	v_not_b32_e32 v6, v6
	s_mul_u64 s[18:19], s[14:15], s[2:3]
	s_delay_alu instid0(SALU_CYCLE_1) | instskip(NEXT) | instid1(VALU_DEP_1)
	s_lshl_b64 s[18:19], s[18:19], 4
	v_add_nc_u64_e32 v[6:7], s[4:5], v[6:7]
	s_add_nc_u64 s[18:19], s[10:11], s[18:19]
	s_delay_alu instid0(VALU_DEP_1) | instskip(SKIP_1) | instid1(VALU_DEP_2)
	v_lshlrev_b64_e32 v[8:9], 3, v[6:7]
	v_sub_nc_u32_e32 v6, s16, v6
	v_cvt_f64_u32_e32 v[10:11], v9
	s_delay_alu instid0(VALU_DEP_3) | instskip(NEXT) | instid1(VALU_DEP_1)
	v_or_b32_e32 v7, 1, v8
	v_cvt_f64_u32_e32 v[8:9], v7
	s_delay_alu instid0(VALU_DEP_3) | instskip(NEXT) | instid1(VALU_DEP_1)
	v_ldexp_f64 v[10:11], v[10:11], 32
	v_add_f64_e32 v[8:9], v[10:11], v[8:9]
	s_delay_alu instid0(VALU_DEP_1) | instskip(SKIP_1) | instid1(VALU_DEP_1)
	v_cmp_gt_f64_e32 vcc_lo, 0x10000000, v[8:9]
	v_cndmask_b32_e64 v7, 0, 0x100, vcc_lo
	v_ldexp_f64 v[8:9], v[8:9], v7
	v_cndmask_b32_e64 v7, 0, 0xffffff80, vcc_lo
	s_delay_alu instid0(VALU_DEP_2) | instskip(SKIP_1) | instid1(TRANS32_DEP_1)
	v_rsq_f64_e32 v[10:11], v[8:9]
	v_cmp_class_f64_e64 vcc_lo, v[8:9], 0x260
	v_mul_f64_e32 v[12:13], v[8:9], v[10:11]
	v_mul_f64_e32 v[10:11], 0.5, v[10:11]
	s_delay_alu instid0(VALU_DEP_1) | instskip(NEXT) | instid1(VALU_DEP_1)
	v_fma_f64 v[14:15], -v[10:11], v[12:13], 0.5
	v_fmac_f64_e32 v[12:13], v[12:13], v[14:15]
	v_fmac_f64_e32 v[10:11], v[10:11], v[14:15]
	s_delay_alu instid0(VALU_DEP_2) | instskip(NEXT) | instid1(VALU_DEP_1)
	v_fma_f64 v[14:15], -v[12:13], v[12:13], v[8:9]
	v_fmac_f64_e32 v[12:13], v[14:15], v[10:11]
	s_delay_alu instid0(VALU_DEP_1) | instskip(NEXT) | instid1(VALU_DEP_1)
	v_fma_f64 v[14:15], -v[12:13], v[12:13], v[8:9]
	v_fmac_f64_e32 v[12:13], v[14:15], v[10:11]
	s_delay_alu instid0(VALU_DEP_1) | instskip(NEXT) | instid1(VALU_DEP_1)
	v_ldexp_f64 v[10:11], v[12:13], v7
	v_dual_cndmask_b32 v9, v11, v9 :: v_dual_cndmask_b32 v8, v10, v8
	s_delay_alu instid0(VALU_DEP_1) | instskip(NEXT) | instid1(VALU_DEP_1)
	v_add_f64_e32 v[8:9], -1.0, v[8:9]
	v_mul_f64_e32 v[8:9], 0.5, v[8:9]
	s_delay_alu instid0(VALU_DEP_1) | instskip(NEXT) | instid1(VALU_DEP_1)
	v_cvt_i32_f64_e32 v14, v[8:9]
	v_mad_u32 v7, v14, v14, v14
	v_ashrrev_i32_e32 v15, 31, v14
	s_delay_alu instid0(VALU_DEP_1) | instskip(NEXT) | instid1(VALU_DEP_3)
	v_sub_nc_u64_e32 v[10:11], s[24:25], v[14:15]
	v_lshrrev_b32_e32 v8, 31, v7
	s_delay_alu instid0(VALU_DEP_2) | instskip(NEXT) | instid1(VALU_DEP_2)
	v_lshl_add_u64 v[10:11], v[10:11], 4, s[18:19]
	v_add_nc_u32_e32 v7, v7, v8
	global_load_b128 v[10:13], v[10:11], off offset:-16
	v_ashrrev_i32_e32 v7, 1, v7
	s_delay_alu instid0(VALU_DEP_1) | instskip(NEXT) | instid1(VALU_DEP_1)
	v_dual_add_nc_u32 v16, v6, v7 :: v_dual_sub_nc_u32 v14, s16, v14
	v_ashrrev_i32_e32 v17, 31, v16
	global_load_b128 v[6:9], v16, s[18:19] scale_offset
	v_ashrrev_i32_e32 v15, 31, v14
	s_wait_xcnt 0x0
	s_mul_u64 s[18:19], s[22:23], s[2:3]
	s_delay_alu instid0(SALU_CYCLE_1) | instskip(NEXT) | instid1(SALU_CYCLE_1)
	s_lshl_b64 s[18:19], s[18:19], 4
	s_add_nc_u64 s[18:19], s[12:13], s[18:19]
	s_wait_loadcnt 0x0
	v_mul_f64_e32 v[20:21], v[2:3], v[8:9]
	v_mul_u64_e32 v[14:15], s[20:21], v[14:15]
	v_mul_f64_e32 v[8:9], v[4:5], v[8:9]
	s_delay_alu instid0(VALU_DEP_3) | instskip(NEXT) | instid1(VALU_DEP_3)
	v_fmac_f64_e32 v[20:21], v[4:5], v[6:7]
	v_lshl_add_u64 v[14:15], v[14:15], 4, s[18:19]
	s_delay_alu instid0(VALU_DEP_3) | instskip(NEXT) | instid1(VALU_DEP_2)
	v_fma_f64 v[2:3], v[2:3], v[6:7], -v[8:9]
	v_lshl_add_u64 v[18:19], v[16:17], 4, v[14:15]
	global_load_b128 v[14:17], v[18:19], off
	v_mul_f64_e32 v[4:5], v[12:13], v[20:21]
	v_mul_f64_e32 v[6:7], v[10:11], v[20:21]
	s_delay_alu instid0(VALU_DEP_2) | instskip(NEXT) | instid1(VALU_DEP_2)
	v_fma_f64 v[4:5], v[10:11], v[2:3], -v[4:5]
	v_fmac_f64_e32 v[6:7], v[12:13], v[2:3]
	s_wait_loadcnt 0x0
	s_delay_alu instid0(VALU_DEP_2) | instskip(NEXT) | instid1(VALU_DEP_2)
	v_add_f64_e32 v[2:3], v[14:15], v[4:5]
	v_add_f64_e32 v[4:5], v[6:7], v[16:17]
	global_store_b128 v[18:19], v[2:5], off
	s_branch .LBB26_2
.LBB26_7:
	s_endpgm
	.section	.rodata,"a",@progbits
	.p2align	6, 0x0
	.amdhsa_kernel _ZL23rocblas_syr_kernel_inc1ILb0ELi1024E19rocblas_complex_numIdEPKS1_S3_PS1_EvimT2_lT3_llT4_llli
		.amdhsa_group_segment_fixed_size 0
		.amdhsa_private_segment_fixed_size 0
		.amdhsa_kernarg_size 352
		.amdhsa_user_sgpr_count 2
		.amdhsa_user_sgpr_dispatch_ptr 0
		.amdhsa_user_sgpr_queue_ptr 0
		.amdhsa_user_sgpr_kernarg_segment_ptr 1
		.amdhsa_user_sgpr_dispatch_id 0
		.amdhsa_user_sgpr_kernarg_preload_length 0
		.amdhsa_user_sgpr_kernarg_preload_offset 0
		.amdhsa_user_sgpr_private_segment_size 0
		.amdhsa_wavefront_size32 1
		.amdhsa_uses_dynamic_stack 0
		.amdhsa_enable_private_segment 0
		.amdhsa_system_sgpr_workgroup_id_x 1
		.amdhsa_system_sgpr_workgroup_id_y 0
		.amdhsa_system_sgpr_workgroup_id_z 1
		.amdhsa_system_sgpr_workgroup_info 0
		.amdhsa_system_vgpr_workitem_id 0
		.amdhsa_next_free_vgpr 22
		.amdhsa_next_free_sgpr 31
		.amdhsa_named_barrier_count 0
		.amdhsa_reserve_vcc 1
		.amdhsa_float_round_mode_32 0
		.amdhsa_float_round_mode_16_64 0
		.amdhsa_float_denorm_mode_32 3
		.amdhsa_float_denorm_mode_16_64 3
		.amdhsa_fp16_overflow 0
		.amdhsa_memory_ordered 1
		.amdhsa_forward_progress 1
		.amdhsa_inst_pref_size 7
		.amdhsa_round_robin_scheduling 0
		.amdhsa_exception_fp_ieee_invalid_op 0
		.amdhsa_exception_fp_denorm_src 0
		.amdhsa_exception_fp_ieee_div_zero 0
		.amdhsa_exception_fp_ieee_overflow 0
		.amdhsa_exception_fp_ieee_underflow 0
		.amdhsa_exception_fp_ieee_inexact 0
		.amdhsa_exception_int_div_zero 0
	.end_amdhsa_kernel
	.section	.text._ZL23rocblas_syr_kernel_inc1ILb0ELi1024E19rocblas_complex_numIdEPKS1_S3_PS1_EvimT2_lT3_llT4_llli,"axG",@progbits,_ZL23rocblas_syr_kernel_inc1ILb0ELi1024E19rocblas_complex_numIdEPKS1_S3_PS1_EvimT2_lT3_llT4_llli,comdat
.Lfunc_end26:
	.size	_ZL23rocblas_syr_kernel_inc1ILb0ELi1024E19rocblas_complex_numIdEPKS1_S3_PS1_EvimT2_lT3_llT4_llli, .Lfunc_end26-_ZL23rocblas_syr_kernel_inc1ILb0ELi1024E19rocblas_complex_numIdEPKS1_S3_PS1_EvimT2_lT3_llT4_llli
                                        ; -- End function
	.set _ZL23rocblas_syr_kernel_inc1ILb0ELi1024E19rocblas_complex_numIdEPKS1_S3_PS1_EvimT2_lT3_llT4_llli.num_vgpr, 22
	.set _ZL23rocblas_syr_kernel_inc1ILb0ELi1024E19rocblas_complex_numIdEPKS1_S3_PS1_EvimT2_lT3_llT4_llli.num_agpr, 0
	.set _ZL23rocblas_syr_kernel_inc1ILb0ELi1024E19rocblas_complex_numIdEPKS1_S3_PS1_EvimT2_lT3_llT4_llli.numbered_sgpr, 31
	.set _ZL23rocblas_syr_kernel_inc1ILb0ELi1024E19rocblas_complex_numIdEPKS1_S3_PS1_EvimT2_lT3_llT4_llli.num_named_barrier, 0
	.set _ZL23rocblas_syr_kernel_inc1ILb0ELi1024E19rocblas_complex_numIdEPKS1_S3_PS1_EvimT2_lT3_llT4_llli.private_seg_size, 0
	.set _ZL23rocblas_syr_kernel_inc1ILb0ELi1024E19rocblas_complex_numIdEPKS1_S3_PS1_EvimT2_lT3_llT4_llli.uses_vcc, 1
	.set _ZL23rocblas_syr_kernel_inc1ILb0ELi1024E19rocblas_complex_numIdEPKS1_S3_PS1_EvimT2_lT3_llT4_llli.uses_flat_scratch, 0
	.set _ZL23rocblas_syr_kernel_inc1ILb0ELi1024E19rocblas_complex_numIdEPKS1_S3_PS1_EvimT2_lT3_llT4_llli.has_dyn_sized_stack, 0
	.set _ZL23rocblas_syr_kernel_inc1ILb0ELi1024E19rocblas_complex_numIdEPKS1_S3_PS1_EvimT2_lT3_llT4_llli.has_recursion, 0
	.set _ZL23rocblas_syr_kernel_inc1ILb0ELi1024E19rocblas_complex_numIdEPKS1_S3_PS1_EvimT2_lT3_llT4_llli.has_indirect_call, 0
	.section	.AMDGPU.csdata,"",@progbits
; Kernel info:
; codeLenInByte = 788
; TotalNumSgprs: 33
; NumVgprs: 22
; ScratchSize: 0
; MemoryBound: 0
; FloatMode: 240
; IeeeMode: 1
; LDSByteSize: 0 bytes/workgroup (compile time only)
; SGPRBlocks: 0
; VGPRBlocks: 1
; NumSGPRsForWavesPerEU: 33
; NumVGPRsForWavesPerEU: 22
; NamedBarCnt: 0
; Occupancy: 16
; WaveLimiterHint : 0
; COMPUTE_PGM_RSRC2:SCRATCH_EN: 0
; COMPUTE_PGM_RSRC2:USER_SGPR: 2
; COMPUTE_PGM_RSRC2:TRAP_HANDLER: 0
; COMPUTE_PGM_RSRC2:TGID_X_EN: 1
; COMPUTE_PGM_RSRC2:TGID_Y_EN: 0
; COMPUTE_PGM_RSRC2:TGID_Z_EN: 1
; COMPUTE_PGM_RSRC2:TIDIG_COMP_CNT: 0
	.section	.text._ZL18rocblas_syr_kernelILb0ELi1024E19rocblas_complex_numIdEPKS1_S3_PS1_EvimT2_lT3_lllT4_llli,"axG",@progbits,_ZL18rocblas_syr_kernelILb0ELi1024E19rocblas_complex_numIdEPKS1_S3_PS1_EvimT2_lT3_lllT4_llli,comdat
	.globl	_ZL18rocblas_syr_kernelILb0ELi1024E19rocblas_complex_numIdEPKS1_S3_PS1_EvimT2_lT3_lllT4_llli ; -- Begin function _ZL18rocblas_syr_kernelILb0ELi1024E19rocblas_complex_numIdEPKS1_S3_PS1_EvimT2_lT3_lllT4_llli
	.p2align	8
	.type	_ZL18rocblas_syr_kernelILb0ELi1024E19rocblas_complex_numIdEPKS1_S3_PS1_EvimT2_lT3_lllT4_llli,@function
_ZL18rocblas_syr_kernelILb0ELi1024E19rocblas_complex_numIdEPKS1_S3_PS1_EvimT2_lT3_lllT4_llli: ; @_ZL18rocblas_syr_kernelILb0ELi1024E19rocblas_complex_numIdEPKS1_S3_PS1_EvimT2_lT3_lllT4_llli
; %bb.0:
	s_load_b32 s28, s[0:1], 0x60
	s_bfe_u32 s2, ttmp6, 0x40014
	s_lshr_b32 s3, ttmp7, 16
	s_add_co_i32 s2, s2, 1
	s_bfe_u32 s4, ttmp6, 0x40008
	s_mul_i32 s2, s3, s2
	s_getreg_b32 s29, hwreg(HW_REG_IB_STS2, 6, 4)
	s_add_co_i32 s4, s4, s2
	s_cmp_eq_u32 s29, 0
	s_cselect_b32 s2, s3, s4
	s_mov_b32 s3, 0
	s_wait_kmcnt 0x0
	s_cmp_ge_u32 s2, s28
	s_cbranch_scc1 .LBB27_7
; %bb.1:
	s_clause 0x3
	s_load_b128 s[20:23], s[0:1], 0x48
	s_load_b512 s[4:19], s[0:1], 0x8
	s_load_b32 s30, s[0:1], 0x0
	s_load_b64 s[24:25], s[0:1], 0x58
	s_bfe_u32 s26, ttmp6, 0x4000c
	s_and_b32 s31, ttmp6, 15
	s_add_co_i32 s33, s26, 1
	s_add_nc_u64 s[26:27], s[0:1], 0x68
	s_wait_xcnt 0x0
	s_mul_i32 s0, ttmp9, s33
	v_mov_b32_e32 v1, 0
	s_add_co_i32 s31, s31, s0
	s_wait_kmcnt 0x0
	s_lshl_b64 s[0:1], s[20:21], 4
	s_lshl_b64 s[20:21], s[12:13], 4
	s_cmp_eq_u32 s29, 0
	s_add_nc_u64 s[12:13], s[18:19], s[0:1]
	s_add_nc_u64 s[10:11], s[10:11], s[20:21]
	s_cselect_b32 s1, ttmp9, s31
	s_add_co_i32 s18, s30, -1
	s_branch .LBB27_4
.LBB27_2:                               ;   in Loop: Header=BB27_4 Depth=1
	s_wait_xcnt 0x0
	s_or_b32 exec_lo, exec_lo, s0
.LBB27_3:                               ;   in Loop: Header=BB27_4 Depth=1
	s_add_co_i32 s2, s2, 0x10000
	s_delay_alu instid0(SALU_CYCLE_1)
	s_cmp_lt_u32 s2, s28
	s_cbranch_scc0 .LBB27_7
.LBB27_4:                               ; =>This Inner Loop Header: Depth=1
	s_wait_xcnt 0x0
	s_mul_u64 s[20:21], s[8:9], s[2:3]
	s_delay_alu instid0(SALU_CYCLE_1) | instskip(NEXT) | instid1(SALU_CYCLE_1)
	s_lshl_b64 s[20:21], s[20:21], 4
	s_add_nc_u64 s[20:21], s[6:7], s[20:21]
	global_load_b128 v[2:5], v1, s[20:21]
	s_wait_loadcnt 0x0
	v_cmp_neq_f64_e32 vcc_lo, 0, v[2:3]
	v_cmp_neq_f64_e64 s0, 0, v[4:5]
	s_or_b32 s0, vcc_lo, s0
	s_delay_alu instid0(SALU_CYCLE_1)
	s_and_not1_b32 vcc_lo, exec_lo, s0
	s_cbranch_vccnz .LBB27_3
; %bb.5:                                ;   in Loop: Header=BB27_4 Depth=1
	s_load_b32 s0, s[26:27], 0xc
	s_wait_kmcnt 0x0
	s_and_b32 s0, s0, 0xffff
	s_delay_alu instid0(SALU_CYCLE_1) | instskip(SKIP_1) | instid1(VALU_DEP_1)
	v_mad_nc_u64_u32 v[6:7], s0, s1, v[0:1]
	s_mov_b32 s0, exec_lo
	v_cmpx_gt_u64_e64 s[4:5], v[6:7]
	s_cbranch_execz .LBB27_2
; %bb.6:                                ;   in Loop: Header=BB27_4 Depth=1
	v_not_b32_e32 v7, v7
	v_not_b32_e32 v6, v6
	s_mul_u64 s[20:21], s[16:17], s[2:3]
	s_delay_alu instid0(SALU_CYCLE_1) | instskip(NEXT) | instid1(VALU_DEP_1)
	s_lshl_b64 s[20:21], s[20:21], 4
	v_add_nc_u64_e32 v[6:7], s[4:5], v[6:7]
	s_add_nc_u64 s[20:21], s[10:11], s[20:21]
	s_delay_alu instid0(VALU_DEP_1) | instskip(SKIP_1) | instid1(VALU_DEP_2)
	v_lshlrev_b64_e32 v[8:9], 3, v[6:7]
	v_sub_nc_u32_e32 v6, s18, v6
	v_cvt_f64_u32_e32 v[10:11], v9
	s_delay_alu instid0(VALU_DEP_3) | instskip(NEXT) | instid1(VALU_DEP_1)
	v_or_b32_e32 v7, 1, v8
	v_cvt_f64_u32_e32 v[8:9], v7
	s_delay_alu instid0(VALU_DEP_3) | instskip(NEXT) | instid1(VALU_DEP_1)
	v_ldexp_f64 v[10:11], v[10:11], 32
	v_add_f64_e32 v[8:9], v[10:11], v[8:9]
	s_delay_alu instid0(VALU_DEP_1) | instskip(SKIP_1) | instid1(VALU_DEP_1)
	v_cmp_gt_f64_e32 vcc_lo, 0x10000000, v[8:9]
	v_cndmask_b32_e64 v7, 0, 0x100, vcc_lo
	v_ldexp_f64 v[8:9], v[8:9], v7
	v_cndmask_b32_e64 v7, 0, 0xffffff80, vcc_lo
	s_delay_alu instid0(VALU_DEP_2) | instskip(SKIP_1) | instid1(TRANS32_DEP_1)
	v_rsq_f64_e32 v[10:11], v[8:9]
	v_cmp_class_f64_e64 vcc_lo, v[8:9], 0x260
	v_mul_f64_e32 v[12:13], v[8:9], v[10:11]
	v_mul_f64_e32 v[10:11], 0.5, v[10:11]
	s_delay_alu instid0(VALU_DEP_1) | instskip(NEXT) | instid1(VALU_DEP_1)
	v_fma_f64 v[14:15], -v[10:11], v[12:13], 0.5
	v_fmac_f64_e32 v[12:13], v[12:13], v[14:15]
	v_fmac_f64_e32 v[10:11], v[10:11], v[14:15]
	s_delay_alu instid0(VALU_DEP_2) | instskip(NEXT) | instid1(VALU_DEP_1)
	v_fma_f64 v[14:15], -v[12:13], v[12:13], v[8:9]
	v_fmac_f64_e32 v[12:13], v[14:15], v[10:11]
	s_delay_alu instid0(VALU_DEP_1) | instskip(NEXT) | instid1(VALU_DEP_1)
	v_fma_f64 v[14:15], -v[12:13], v[12:13], v[8:9]
	v_fmac_f64_e32 v[12:13], v[14:15], v[10:11]
	s_delay_alu instid0(VALU_DEP_1) | instskip(NEXT) | instid1(VALU_DEP_1)
	v_ldexp_f64 v[10:11], v[12:13], v7
	v_dual_cndmask_b32 v9, v11, v9 :: v_dual_cndmask_b32 v8, v10, v8
	s_delay_alu instid0(VALU_DEP_1) | instskip(NEXT) | instid1(VALU_DEP_1)
	v_add_f64_e32 v[8:9], -1.0, v[8:9]
	v_mul_f64_e32 v[8:9], 0.5, v[8:9]
	s_delay_alu instid0(VALU_DEP_1) | instskip(NEXT) | instid1(VALU_DEP_1)
	v_cvt_i32_f64_e32 v10, v[8:9]
	v_mad_u32 v7, v10, v10, v10
	s_delay_alu instid0(VALU_DEP_1) | instskip(NEXT) | instid1(VALU_DEP_1)
	v_lshrrev_b32_e32 v8, 31, v7
	v_add_nc_u32_e32 v7, v7, v8
	s_delay_alu instid0(VALU_DEP_1) | instskip(NEXT) | instid1(VALU_DEP_1)
	v_ashrrev_i32_e32 v7, 1, v7
	v_add_nc_u32_e32 v14, v6, v7
	s_delay_alu instid0(VALU_DEP_1) | instskip(NEXT) | instid1(VALU_DEP_1)
	v_ashrrev_i32_e32 v15, 31, v14
	v_mul_u64_e32 v[6:7], s[14:15], v[14:15]
	s_delay_alu instid0(VALU_DEP_1) | instskip(SKIP_2) | instid1(VALU_DEP_1)
	v_lshl_add_u64 v[6:7], v[6:7], 4, s[20:21]
	global_load_b128 v[6:9], v[6:7], off
	v_sub_nc_u32_e32 v16, s18, v10
	v_ashrrev_i32_e32 v17, 31, v16
	s_delay_alu instid0(VALU_DEP_1) | instskip(NEXT) | instid1(VALU_DEP_1)
	v_mul_u64_e32 v[10:11], s[14:15], v[16:17]
	v_lshl_add_u64 v[10:11], v[10:11], 4, s[20:21]
	s_mul_u64 s[20:21], s[24:25], s[2:3]
	s_delay_alu instid0(SALU_CYCLE_1)
	s_lshl_b64 s[20:21], s[20:21], 4
	global_load_b128 v[10:13], v[10:11], off
	s_add_nc_u64 s[20:21], s[12:13], s[20:21]
	s_wait_loadcnt 0x1
	v_mul_f64_e32 v[20:21], v[2:3], v[8:9]
	v_mul_f64_e32 v[8:9], v[4:5], v[8:9]
	s_delay_alu instid0(VALU_DEP_2) | instskip(NEXT) | instid1(VALU_DEP_2)
	v_fmac_f64_e32 v[20:21], v[4:5], v[6:7]
	v_fma_f64 v[2:3], v[2:3], v[6:7], -v[8:9]
	v_mul_u64_e32 v[16:17], s[22:23], v[16:17]
	s_wait_loadcnt 0x0
	s_delay_alu instid0(VALU_DEP_3) | instskip(SKIP_2) | instid1(VALU_DEP_3)
	v_mul_f64_e32 v[4:5], v[12:13], v[20:21]
	s_wait_xcnt 0x1
	v_mul_f64_e32 v[6:7], v[10:11], v[20:21]
	v_lshl_add_u64 v[16:17], v[16:17], 4, s[20:21]
	s_delay_alu instid0(VALU_DEP_1) | instskip(SKIP_4) | instid1(VALU_DEP_2)
	v_lshl_add_u64 v[18:19], v[14:15], 4, v[16:17]
	global_load_b128 v[14:17], v[18:19], off
	v_fma_f64 v[4:5], v[10:11], v[2:3], -v[4:5]
	v_fmac_f64_e32 v[6:7], v[12:13], v[2:3]
	s_wait_loadcnt 0x0
	v_add_f64_e32 v[2:3], v[14:15], v[4:5]
	s_delay_alu instid0(VALU_DEP_2)
	v_add_f64_e32 v[4:5], v[6:7], v[16:17]
	global_store_b128 v[18:19], v[2:5], off
	s_branch .LBB27_2
.LBB27_7:
	s_endpgm
	.section	.rodata,"a",@progbits
	.p2align	6, 0x0
	.amdhsa_kernel _ZL18rocblas_syr_kernelILb0ELi1024E19rocblas_complex_numIdEPKS1_S3_PS1_EvimT2_lT3_lllT4_llli
		.amdhsa_group_segment_fixed_size 0
		.amdhsa_private_segment_fixed_size 0
		.amdhsa_kernarg_size 360
		.amdhsa_user_sgpr_count 2
		.amdhsa_user_sgpr_dispatch_ptr 0
		.amdhsa_user_sgpr_queue_ptr 0
		.amdhsa_user_sgpr_kernarg_segment_ptr 1
		.amdhsa_user_sgpr_dispatch_id 0
		.amdhsa_user_sgpr_kernarg_preload_length 0
		.amdhsa_user_sgpr_kernarg_preload_offset 0
		.amdhsa_user_sgpr_private_segment_size 0
		.amdhsa_wavefront_size32 1
		.amdhsa_uses_dynamic_stack 0
		.amdhsa_enable_private_segment 0
		.amdhsa_system_sgpr_workgroup_id_x 1
		.amdhsa_system_sgpr_workgroup_id_y 0
		.amdhsa_system_sgpr_workgroup_id_z 1
		.amdhsa_system_sgpr_workgroup_info 0
		.amdhsa_system_vgpr_workitem_id 0
		.amdhsa_next_free_vgpr 22
		.amdhsa_next_free_sgpr 34
		.amdhsa_named_barrier_count 0
		.amdhsa_reserve_vcc 1
		.amdhsa_float_round_mode_32 0
		.amdhsa_float_round_mode_16_64 0
		.amdhsa_float_denorm_mode_32 3
		.amdhsa_float_denorm_mode_16_64 3
		.amdhsa_fp16_overflow 0
		.amdhsa_memory_ordered 1
		.amdhsa_forward_progress 1
		.amdhsa_inst_pref_size 7
		.amdhsa_round_robin_scheduling 0
		.amdhsa_exception_fp_ieee_invalid_op 0
		.amdhsa_exception_fp_denorm_src 0
		.amdhsa_exception_fp_ieee_div_zero 0
		.amdhsa_exception_fp_ieee_overflow 0
		.amdhsa_exception_fp_ieee_underflow 0
		.amdhsa_exception_fp_ieee_inexact 0
		.amdhsa_exception_int_div_zero 0
	.end_amdhsa_kernel
	.section	.text._ZL18rocblas_syr_kernelILb0ELi1024E19rocblas_complex_numIdEPKS1_S3_PS1_EvimT2_lT3_lllT4_llli,"axG",@progbits,_ZL18rocblas_syr_kernelILb0ELi1024E19rocblas_complex_numIdEPKS1_S3_PS1_EvimT2_lT3_lllT4_llli,comdat
.Lfunc_end27:
	.size	_ZL18rocblas_syr_kernelILb0ELi1024E19rocblas_complex_numIdEPKS1_S3_PS1_EvimT2_lT3_lllT4_llli, .Lfunc_end27-_ZL18rocblas_syr_kernelILb0ELi1024E19rocblas_complex_numIdEPKS1_S3_PS1_EvimT2_lT3_lllT4_llli
                                        ; -- End function
	.set _ZL18rocblas_syr_kernelILb0ELi1024E19rocblas_complex_numIdEPKS1_S3_PS1_EvimT2_lT3_lllT4_llli.num_vgpr, 22
	.set _ZL18rocblas_syr_kernelILb0ELi1024E19rocblas_complex_numIdEPKS1_S3_PS1_EvimT2_lT3_lllT4_llli.num_agpr, 0
	.set _ZL18rocblas_syr_kernelILb0ELi1024E19rocblas_complex_numIdEPKS1_S3_PS1_EvimT2_lT3_lllT4_llli.numbered_sgpr, 34
	.set _ZL18rocblas_syr_kernelILb0ELi1024E19rocblas_complex_numIdEPKS1_S3_PS1_EvimT2_lT3_lllT4_llli.num_named_barrier, 0
	.set _ZL18rocblas_syr_kernelILb0ELi1024E19rocblas_complex_numIdEPKS1_S3_PS1_EvimT2_lT3_lllT4_llli.private_seg_size, 0
	.set _ZL18rocblas_syr_kernelILb0ELi1024E19rocblas_complex_numIdEPKS1_S3_PS1_EvimT2_lT3_lllT4_llli.uses_vcc, 1
	.set _ZL18rocblas_syr_kernelILb0ELi1024E19rocblas_complex_numIdEPKS1_S3_PS1_EvimT2_lT3_lllT4_llli.uses_flat_scratch, 0
	.set _ZL18rocblas_syr_kernelILb0ELi1024E19rocblas_complex_numIdEPKS1_S3_PS1_EvimT2_lT3_lllT4_llli.has_dyn_sized_stack, 0
	.set _ZL18rocblas_syr_kernelILb0ELi1024E19rocblas_complex_numIdEPKS1_S3_PS1_EvimT2_lT3_lllT4_llli.has_recursion, 0
	.set _ZL18rocblas_syr_kernelILb0ELi1024E19rocblas_complex_numIdEPKS1_S3_PS1_EvimT2_lT3_lllT4_llli.has_indirect_call, 0
	.section	.AMDGPU.csdata,"",@progbits
; Kernel info:
; codeLenInByte = 808
; TotalNumSgprs: 36
; NumVgprs: 22
; ScratchSize: 0
; MemoryBound: 0
; FloatMode: 240
; IeeeMode: 1
; LDSByteSize: 0 bytes/workgroup (compile time only)
; SGPRBlocks: 0
; VGPRBlocks: 1
; NumSGPRsForWavesPerEU: 36
; NumVGPRsForWavesPerEU: 22
; NamedBarCnt: 0
; Occupancy: 16
; WaveLimiterHint : 0
; COMPUTE_PGM_RSRC2:SCRATCH_EN: 0
; COMPUTE_PGM_RSRC2:USER_SGPR: 2
; COMPUTE_PGM_RSRC2:TRAP_HANDLER: 0
; COMPUTE_PGM_RSRC2:TGID_X_EN: 1
; COMPUTE_PGM_RSRC2:TGID_Y_EN: 0
; COMPUTE_PGM_RSRC2:TGID_Z_EN: 1
; COMPUTE_PGM_RSRC2:TIDIG_COMP_CNT: 0
	.section	.text._ZL23rocblas_syr_kernel_inc1ILb1ELi1024E19rocblas_complex_numIdES1_PKS1_PS1_EvimT2_lT3_llT4_llli,"axG",@progbits,_ZL23rocblas_syr_kernel_inc1ILb1ELi1024E19rocblas_complex_numIdES1_PKS1_PS1_EvimT2_lT3_llT4_llli,comdat
	.globl	_ZL23rocblas_syr_kernel_inc1ILb1ELi1024E19rocblas_complex_numIdES1_PKS1_PS1_EvimT2_lT3_llT4_llli ; -- Begin function _ZL23rocblas_syr_kernel_inc1ILb1ELi1024E19rocblas_complex_numIdES1_PKS1_PS1_EvimT2_lT3_llT4_llli
	.p2align	8
	.type	_ZL23rocblas_syr_kernel_inc1ILb1ELi1024E19rocblas_complex_numIdES1_PKS1_PS1_EvimT2_lT3_llT4_llli,@function
_ZL23rocblas_syr_kernel_inc1ILb1ELi1024E19rocblas_complex_numIdES1_PKS1_PS1_EvimT2_lT3_llT4_llli: ; @_ZL23rocblas_syr_kernel_inc1ILb1ELi1024E19rocblas_complex_numIdES1_PKS1_PS1_EvimT2_lT3_llT4_llli
; %bb.0:
	s_load_b32 s24, s[0:1], 0x60
	s_bfe_u32 s2, ttmp6, 0x40014
	s_lshr_b32 s3, ttmp7, 16
	s_add_co_i32 s2, s2, 1
	s_bfe_u32 s4, ttmp6, 0x40008
	s_mul_i32 s2, s3, s2
	s_getreg_b32 s25, hwreg(HW_REG_IB_STS2, 6, 4)
	s_add_co_i32 s4, s4, s2
	s_cmp_eq_u32 s25, 0
	s_cselect_b32 s2, s3, s4
	s_mov_b32 s3, 0
	s_wait_kmcnt 0x0
	s_cmp_ge_u32 s2, s24
	s_cbranch_scc1 .LBB28_7
; %bb.1:
	s_clause 0x4
	s_load_b128 s[12:15], s[0:1], 0x8
	s_load_b64 s[20:21], s[0:1], 0x18
	s_load_b128 s[16:19], s[0:1], 0x48
	s_load_b256 s[4:11], s[0:1], 0x28
	s_load_b64 s[22:23], s[0:1], 0x58
	s_bfe_u32 s26, ttmp6, 0x4000c
	s_and_b32 s27, ttmp6, 15
	s_add_co_i32 s26, s26, 1
	v_mov_b32_e32 v1, 0
	s_mul_i32 s26, ttmp9, s26
	s_wait_xcnt 0x0
	s_add_nc_u64 s[0:1], s[0:1], 0x68
	s_add_co_i32 s30, s27, s26
	s_wait_kmcnt 0x0
	s_lshl_b64 s[16:17], s[16:17], 4
	v_cmp_neq_f64_e64 s28, s[14:15], 0
	v_cmp_neq_f64_e64 s29, s[20:21], 0
	s_lshl_b64 s[26:27], s[6:7], 4
	s_add_nc_u64 s[6:7], s[10:11], s[16:17]
	s_add_nc_u64 s[4:5], s[4:5], s[26:27]
	s_or_b32 s10, s28, s29
	s_cmp_eq_u32 s25, 0
	s_cselect_b32 s11, ttmp9, s30
	s_branch .LBB28_4
.LBB28_2:                               ;   in Loop: Header=BB28_4 Depth=1
	s_wait_xcnt 0x0
	s_or_b32 exec_lo, exec_lo, s16
.LBB28_3:                               ;   in Loop: Header=BB28_4 Depth=1
	s_add_co_i32 s2, s2, 0x10000
	s_delay_alu instid0(SALU_CYCLE_1)
	s_cmp_lt_u32 s2, s24
	s_cbranch_scc0 .LBB28_7
.LBB28_4:                               ; =>This Inner Loop Header: Depth=1
	s_and_not1_b32 vcc_lo, exec_lo, s10
	s_cbranch_vccnz .LBB28_3
; %bb.5:                                ;   in Loop: Header=BB28_4 Depth=1
	s_load_b32 s16, s[0:1], 0xc
	s_wait_kmcnt 0x0
	s_and_b32 s16, s16, 0xffff
	s_delay_alu instid0(SALU_CYCLE_1) | instskip(SKIP_1) | instid1(VALU_DEP_1)
	v_mad_nc_u64_u32 v[2:3], s16, s11, v[0:1]
	s_mov_b32 s16, exec_lo
	v_cmpx_gt_u64_e64 s[12:13], v[2:3]
	s_cbranch_execz .LBB28_2
; %bb.6:                                ;   in Loop: Header=BB28_4 Depth=1
	v_lshlrev_b64_e32 v[4:5], 3, v[2:3]
	s_mul_u64 s[26:27], s[8:9], s[2:3]
	s_delay_alu instid0(SALU_CYCLE_1) | instskip(NEXT) | instid1(SALU_CYCLE_1)
	s_lshl_b64 s[26:27], s[26:27], 4
	s_add_nc_u64 s[26:27], s[4:5], s[26:27]
	s_delay_alu instid0(VALU_DEP_1) | instskip(NEXT) | instid1(VALU_DEP_2)
	v_cvt_f64_u32_e32 v[6:7], v5
	v_or_b32_e32 v3, 1, v4
	s_delay_alu instid0(VALU_DEP_1) | instskip(NEXT) | instid1(VALU_DEP_3)
	v_cvt_f64_u32_e32 v[4:5], v3
	v_ldexp_f64 v[6:7], v[6:7], 32
	s_delay_alu instid0(VALU_DEP_1) | instskip(NEXT) | instid1(VALU_DEP_1)
	v_add_f64_e32 v[4:5], v[6:7], v[4:5]
	v_cmp_gt_f64_e32 vcc_lo, 0x10000000, v[4:5]
	v_cndmask_b32_e64 v3, 0, 0x100, vcc_lo
	s_delay_alu instid0(VALU_DEP_1) | instskip(SKIP_1) | instid1(VALU_DEP_2)
	v_ldexp_f64 v[4:5], v[4:5], v3
	v_cndmask_b32_e64 v3, 0, 0xffffff80, vcc_lo
	v_rsq_f64_e32 v[6:7], v[4:5]
	v_cmp_class_f64_e64 vcc_lo, v[4:5], 0x260
	s_delay_alu instid0(TRANS32_DEP_1) | instskip(SKIP_1) | instid1(VALU_DEP_1)
	v_mul_f64_e32 v[8:9], v[4:5], v[6:7]
	v_mul_f64_e32 v[6:7], 0.5, v[6:7]
	v_fma_f64 v[10:11], -v[6:7], v[8:9], 0.5
	s_delay_alu instid0(VALU_DEP_1) | instskip(SKIP_1) | instid1(VALU_DEP_2)
	v_fmac_f64_e32 v[8:9], v[8:9], v[10:11]
	v_fmac_f64_e32 v[6:7], v[6:7], v[10:11]
	v_fma_f64 v[10:11], -v[8:9], v[8:9], v[4:5]
	s_delay_alu instid0(VALU_DEP_1) | instskip(NEXT) | instid1(VALU_DEP_1)
	v_fmac_f64_e32 v[8:9], v[10:11], v[6:7]
	v_fma_f64 v[10:11], -v[8:9], v[8:9], v[4:5]
	s_delay_alu instid0(VALU_DEP_1) | instskip(NEXT) | instid1(VALU_DEP_1)
	v_fmac_f64_e32 v[8:9], v[10:11], v[6:7]
	v_ldexp_f64 v[6:7], v[8:9], v3
	s_delay_alu instid0(VALU_DEP_1) | instskip(NEXT) | instid1(VALU_DEP_1)
	v_dual_cndmask_b32 v5, v7, v5 :: v_dual_cndmask_b32 v4, v6, v4
	v_add_f64_e32 v[4:5], -1.0, v[4:5]
	s_delay_alu instid0(VALU_DEP_1) | instskip(NEXT) | instid1(VALU_DEP_1)
	v_mul_f64_e32 v[4:5], 0.5, v[4:5]
	v_cvt_i32_f64_e32 v10, v[4:5]
	s_delay_alu instid0(VALU_DEP_1) | instskip(NEXT) | instid1(VALU_DEP_1)
	v_mad_u32 v3, v10, v10, v10
	v_dual_ashrrev_i32 v11, 31, v10 :: v_dual_lshrrev_b32 v4, 31, v3
	s_delay_alu instid0(VALU_DEP_1) | instskip(NEXT) | instid1(VALU_DEP_1)
	v_add_nc_u32_e32 v3, v3, v4
	v_ashrrev_i32_e32 v3, 1, v3
	s_delay_alu instid0(VALU_DEP_1)
	v_sub_nc_u32_e32 v12, v2, v3
	s_clause 0x1
	global_load_b128 v[2:5], v12, s[26:27] scale_offset
	global_load_b128 v[6:9], v10, s[26:27] scale_offset
	s_wait_xcnt 0x0
	v_mul_u64_e32 v[10:11], s[18:19], v[10:11]
	s_mul_u64 s[26:27], s[22:23], s[2:3]
	s_delay_alu instid0(SALU_CYCLE_1) | instskip(NEXT) | instid1(SALU_CYCLE_1)
	s_lshl_b64 s[26:27], s[26:27], 4
	s_add_nc_u64 s[26:27], s[6:7], s[26:27]
	s_delay_alu instid0(VALU_DEP_1) | instid1(SALU_CYCLE_1)
	v_lshl_add_u64 v[10:11], v[10:11], 4, s[26:27]
	s_wait_loadcnt 0x1
	v_mul_f64_e32 v[16:17], s[14:15], v[4:5]
	v_mul_f64_e32 v[4:5], s[20:21], v[4:5]
	v_ashrrev_i32_e32 v13, 31, v12
	s_delay_alu instid0(VALU_DEP_3) | instskip(NEXT) | instid1(VALU_DEP_3)
	v_fmac_f64_e32 v[16:17], s[20:21], v[2:3]
	v_fma_f64 v[2:3], s[14:15], v[2:3], -v[4:5]
	s_delay_alu instid0(VALU_DEP_3) | instskip(SKIP_4) | instid1(VALU_DEP_2)
	v_lshl_add_u64 v[14:15], v[12:13], 4, v[10:11]
	global_load_b128 v[10:13], v[14:15], off
	s_wait_loadcnt 0x1
	v_mul_f64_e32 v[4:5], v[8:9], v[16:17]
	v_mul_f64_e32 v[16:17], v[6:7], v[16:17]
	v_fma_f64 v[4:5], v[6:7], v[2:3], -v[4:5]
	s_delay_alu instid0(VALU_DEP_2) | instskip(SKIP_1) | instid1(VALU_DEP_2)
	v_fmac_f64_e32 v[16:17], v[8:9], v[2:3]
	s_wait_loadcnt 0x0
	v_add_f64_e32 v[2:3], v[10:11], v[4:5]
	s_delay_alu instid0(VALU_DEP_2)
	v_add_f64_e32 v[4:5], v[16:17], v[12:13]
	global_store_b128 v[14:15], v[2:5], off
	s_branch .LBB28_2
.LBB28_7:
	s_endpgm
	.section	.rodata,"a",@progbits
	.p2align	6, 0x0
	.amdhsa_kernel _ZL23rocblas_syr_kernel_inc1ILb1ELi1024E19rocblas_complex_numIdES1_PKS1_PS1_EvimT2_lT3_llT4_llli
		.amdhsa_group_segment_fixed_size 0
		.amdhsa_private_segment_fixed_size 0
		.amdhsa_kernarg_size 360
		.amdhsa_user_sgpr_count 2
		.amdhsa_user_sgpr_dispatch_ptr 0
		.amdhsa_user_sgpr_queue_ptr 0
		.amdhsa_user_sgpr_kernarg_segment_ptr 1
		.amdhsa_user_sgpr_dispatch_id 0
		.amdhsa_user_sgpr_kernarg_preload_length 0
		.amdhsa_user_sgpr_kernarg_preload_offset 0
		.amdhsa_user_sgpr_private_segment_size 0
		.amdhsa_wavefront_size32 1
		.amdhsa_uses_dynamic_stack 0
		.amdhsa_enable_private_segment 0
		.amdhsa_system_sgpr_workgroup_id_x 1
		.amdhsa_system_sgpr_workgroup_id_y 0
		.amdhsa_system_sgpr_workgroup_id_z 1
		.amdhsa_system_sgpr_workgroup_info 0
		.amdhsa_system_vgpr_workitem_id 0
		.amdhsa_next_free_vgpr 18
		.amdhsa_next_free_sgpr 31
		.amdhsa_named_barrier_count 0
		.amdhsa_reserve_vcc 1
		.amdhsa_float_round_mode_32 0
		.amdhsa_float_round_mode_16_64 0
		.amdhsa_float_denorm_mode_32 3
		.amdhsa_float_denorm_mode_16_64 3
		.amdhsa_fp16_overflow 0
		.amdhsa_memory_ordered 1
		.amdhsa_forward_progress 1
		.amdhsa_inst_pref_size 6
		.amdhsa_round_robin_scheduling 0
		.amdhsa_exception_fp_ieee_invalid_op 0
		.amdhsa_exception_fp_denorm_src 0
		.amdhsa_exception_fp_ieee_div_zero 0
		.amdhsa_exception_fp_ieee_overflow 0
		.amdhsa_exception_fp_ieee_underflow 0
		.amdhsa_exception_fp_ieee_inexact 0
		.amdhsa_exception_int_div_zero 0
	.end_amdhsa_kernel
	.section	.text._ZL23rocblas_syr_kernel_inc1ILb1ELi1024E19rocblas_complex_numIdES1_PKS1_PS1_EvimT2_lT3_llT4_llli,"axG",@progbits,_ZL23rocblas_syr_kernel_inc1ILb1ELi1024E19rocblas_complex_numIdES1_PKS1_PS1_EvimT2_lT3_llT4_llli,comdat
.Lfunc_end28:
	.size	_ZL23rocblas_syr_kernel_inc1ILb1ELi1024E19rocblas_complex_numIdES1_PKS1_PS1_EvimT2_lT3_llT4_llli, .Lfunc_end28-_ZL23rocblas_syr_kernel_inc1ILb1ELi1024E19rocblas_complex_numIdES1_PKS1_PS1_EvimT2_lT3_llT4_llli
                                        ; -- End function
	.set _ZL23rocblas_syr_kernel_inc1ILb1ELi1024E19rocblas_complex_numIdES1_PKS1_PS1_EvimT2_lT3_llT4_llli.num_vgpr, 18
	.set _ZL23rocblas_syr_kernel_inc1ILb1ELi1024E19rocblas_complex_numIdES1_PKS1_PS1_EvimT2_lT3_llT4_llli.num_agpr, 0
	.set _ZL23rocblas_syr_kernel_inc1ILb1ELi1024E19rocblas_complex_numIdES1_PKS1_PS1_EvimT2_lT3_llT4_llli.numbered_sgpr, 31
	.set _ZL23rocblas_syr_kernel_inc1ILb1ELi1024E19rocblas_complex_numIdES1_PKS1_PS1_EvimT2_lT3_llT4_llli.num_named_barrier, 0
	.set _ZL23rocblas_syr_kernel_inc1ILb1ELi1024E19rocblas_complex_numIdES1_PKS1_PS1_EvimT2_lT3_llT4_llli.private_seg_size, 0
	.set _ZL23rocblas_syr_kernel_inc1ILb1ELi1024E19rocblas_complex_numIdES1_PKS1_PS1_EvimT2_lT3_llT4_llli.uses_vcc, 1
	.set _ZL23rocblas_syr_kernel_inc1ILb1ELi1024E19rocblas_complex_numIdES1_PKS1_PS1_EvimT2_lT3_llT4_llli.uses_flat_scratch, 0
	.set _ZL23rocblas_syr_kernel_inc1ILb1ELi1024E19rocblas_complex_numIdES1_PKS1_PS1_EvimT2_lT3_llT4_llli.has_dyn_sized_stack, 0
	.set _ZL23rocblas_syr_kernel_inc1ILb1ELi1024E19rocblas_complex_numIdES1_PKS1_PS1_EvimT2_lT3_llT4_llli.has_recursion, 0
	.set _ZL23rocblas_syr_kernel_inc1ILb1ELi1024E19rocblas_complex_numIdES1_PKS1_PS1_EvimT2_lT3_llT4_llli.has_indirect_call, 0
	.section	.AMDGPU.csdata,"",@progbits
; Kernel info:
; codeLenInByte = 732
; TotalNumSgprs: 33
; NumVgprs: 18
; ScratchSize: 0
; MemoryBound: 0
; FloatMode: 240
; IeeeMode: 1
; LDSByteSize: 0 bytes/workgroup (compile time only)
; SGPRBlocks: 0
; VGPRBlocks: 1
; NumSGPRsForWavesPerEU: 33
; NumVGPRsForWavesPerEU: 18
; NamedBarCnt: 0
; Occupancy: 16
; WaveLimiterHint : 0
; COMPUTE_PGM_RSRC2:SCRATCH_EN: 0
; COMPUTE_PGM_RSRC2:USER_SGPR: 2
; COMPUTE_PGM_RSRC2:TRAP_HANDLER: 0
; COMPUTE_PGM_RSRC2:TGID_X_EN: 1
; COMPUTE_PGM_RSRC2:TGID_Y_EN: 0
; COMPUTE_PGM_RSRC2:TGID_Z_EN: 1
; COMPUTE_PGM_RSRC2:TIDIG_COMP_CNT: 0
	.section	.text._ZL18rocblas_syr_kernelILb1ELi1024E19rocblas_complex_numIdES1_PKS1_PS1_EvimT2_lT3_lllT4_llli,"axG",@progbits,_ZL18rocblas_syr_kernelILb1ELi1024E19rocblas_complex_numIdES1_PKS1_PS1_EvimT2_lT3_lllT4_llli,comdat
	.globl	_ZL18rocblas_syr_kernelILb1ELi1024E19rocblas_complex_numIdES1_PKS1_PS1_EvimT2_lT3_lllT4_llli ; -- Begin function _ZL18rocblas_syr_kernelILb1ELi1024E19rocblas_complex_numIdES1_PKS1_PS1_EvimT2_lT3_lllT4_llli
	.p2align	8
	.type	_ZL18rocblas_syr_kernelILb1ELi1024E19rocblas_complex_numIdES1_PKS1_PS1_EvimT2_lT3_lllT4_llli,@function
_ZL18rocblas_syr_kernelILb1ELi1024E19rocblas_complex_numIdES1_PKS1_PS1_EvimT2_lT3_lllT4_llli: ; @_ZL18rocblas_syr_kernelILb1ELi1024E19rocblas_complex_numIdES1_PKS1_PS1_EvimT2_lT3_lllT4_llli
; %bb.0:
	s_load_b32 s26, s[0:1], 0x68
	s_bfe_u32 s2, ttmp6, 0x40014
	s_lshr_b32 s3, ttmp7, 16
	s_add_co_i32 s2, s2, 1
	s_bfe_u32 s4, ttmp6, 0x40008
	s_mul_i32 s2, s3, s2
	s_getreg_b32 s27, hwreg(HW_REG_IB_STS2, 6, 4)
	s_add_co_i32 s4, s4, s2
	s_cmp_eq_u32 s27, 0
	s_cselect_b32 s2, s3, s4
	s_mov_b32 s3, 0
	s_wait_kmcnt 0x0
	s_cmp_ge_u32 s2, s26
	s_cbranch_scc1 .LBB29_7
; %bb.1:
	s_clause 0x2
	s_load_b128 s[20:23], s[0:1], 0x8
	s_load_b64 s[24:25], s[0:1], 0x18
	s_load_b512 s[4:19], s[0:1], 0x28
	s_bfe_u32 s28, ttmp6, 0x4000c
	s_and_b32 s29, ttmp6, 15
	s_add_co_i32 s28, s28, 1
	v_mov_b32_e32 v1, 0
	s_mul_i32 s28, ttmp9, s28
	s_wait_xcnt 0x0
	s_add_nc_u64 s[0:1], s[0:1], 0x70
	s_add_co_i32 s33, s29, s28
	s_wait_kmcnt 0x0
	v_cmp_neq_f64_e64 s30, s[22:23], 0
	v_cmp_neq_f64_e64 s31, s[24:25], 0
	s_lshl_b64 s[14:15], s[14:15], 4
	s_lshl_b64 s[28:29], s[6:7], 4
	s_add_nc_u64 s[6:7], s[12:13], s[14:15]
	s_add_nc_u64 s[4:5], s[4:5], s[28:29]
	s_or_b32 s12, s30, s31
	s_cmp_eq_u32 s27, 0
	s_cselect_b32 s13, ttmp9, s33
	s_branch .LBB29_4
.LBB29_2:                               ;   in Loop: Header=BB29_4 Depth=1
	s_wait_xcnt 0x0
	s_or_b32 exec_lo, exec_lo, s14
.LBB29_3:                               ;   in Loop: Header=BB29_4 Depth=1
	s_add_co_i32 s2, s2, 0x10000
	s_delay_alu instid0(SALU_CYCLE_1)
	s_cmp_lt_u32 s2, s26
	s_cbranch_scc0 .LBB29_7
.LBB29_4:                               ; =>This Inner Loop Header: Depth=1
	s_and_not1_b32 vcc_lo, exec_lo, s12
	s_cbranch_vccnz .LBB29_3
; %bb.5:                                ;   in Loop: Header=BB29_4 Depth=1
	s_load_b32 s14, s[0:1], 0xc
	s_wait_kmcnt 0x0
	s_and_b32 s14, s14, 0xffff
	s_delay_alu instid0(SALU_CYCLE_1) | instskip(SKIP_1) | instid1(VALU_DEP_1)
	v_mad_nc_u64_u32 v[2:3], s14, s13, v[0:1]
	s_mov_b32 s14, exec_lo
	v_cmpx_gt_u64_e64 s[20:21], v[2:3]
	s_cbranch_execz .LBB29_2
; %bb.6:                                ;   in Loop: Header=BB29_4 Depth=1
	v_lshlrev_b64_e32 v[4:5], 3, v[2:3]
	s_mul_u64 s[28:29], s[10:11], s[2:3]
	s_delay_alu instid0(SALU_CYCLE_1) | instskip(NEXT) | instid1(SALU_CYCLE_1)
	s_lshl_b64 s[28:29], s[28:29], 4
	s_add_nc_u64 s[28:29], s[4:5], s[28:29]
	s_delay_alu instid0(VALU_DEP_1) | instskip(NEXT) | instid1(VALU_DEP_2)
	v_cvt_f64_u32_e32 v[6:7], v5
	v_or_b32_e32 v3, 1, v4
	s_delay_alu instid0(VALU_DEP_1) | instskip(NEXT) | instid1(VALU_DEP_3)
	v_cvt_f64_u32_e32 v[4:5], v3
	v_ldexp_f64 v[6:7], v[6:7], 32
	s_delay_alu instid0(VALU_DEP_1) | instskip(NEXT) | instid1(VALU_DEP_1)
	v_add_f64_e32 v[4:5], v[6:7], v[4:5]
	v_cmp_gt_f64_e32 vcc_lo, 0x10000000, v[4:5]
	v_cndmask_b32_e64 v3, 0, 0x100, vcc_lo
	s_delay_alu instid0(VALU_DEP_1) | instskip(SKIP_1) | instid1(VALU_DEP_2)
	v_ldexp_f64 v[4:5], v[4:5], v3
	v_cndmask_b32_e64 v3, 0, 0xffffff80, vcc_lo
	v_rsq_f64_e32 v[6:7], v[4:5]
	v_cmp_class_f64_e64 vcc_lo, v[4:5], 0x260
	s_delay_alu instid0(TRANS32_DEP_1) | instskip(SKIP_1) | instid1(VALU_DEP_1)
	v_mul_f64_e32 v[8:9], v[4:5], v[6:7]
	v_mul_f64_e32 v[6:7], 0.5, v[6:7]
	v_fma_f64 v[10:11], -v[6:7], v[8:9], 0.5
	s_delay_alu instid0(VALU_DEP_1) | instskip(SKIP_1) | instid1(VALU_DEP_2)
	v_fmac_f64_e32 v[8:9], v[8:9], v[10:11]
	v_fmac_f64_e32 v[6:7], v[6:7], v[10:11]
	v_fma_f64 v[10:11], -v[8:9], v[8:9], v[4:5]
	s_delay_alu instid0(VALU_DEP_1) | instskip(NEXT) | instid1(VALU_DEP_1)
	v_fmac_f64_e32 v[8:9], v[10:11], v[6:7]
	v_fma_f64 v[10:11], -v[8:9], v[8:9], v[4:5]
	s_delay_alu instid0(VALU_DEP_1) | instskip(NEXT) | instid1(VALU_DEP_1)
	v_fmac_f64_e32 v[8:9], v[10:11], v[6:7]
	v_ldexp_f64 v[6:7], v[8:9], v3
	s_delay_alu instid0(VALU_DEP_1) | instskip(NEXT) | instid1(VALU_DEP_1)
	v_dual_cndmask_b32 v5, v7, v5 :: v_dual_cndmask_b32 v4, v6, v4
	v_add_f64_e32 v[4:5], -1.0, v[4:5]
	s_delay_alu instid0(VALU_DEP_1) | instskip(NEXT) | instid1(VALU_DEP_1)
	v_mul_f64_e32 v[4:5], 0.5, v[4:5]
	v_cvt_i32_f64_e32 v10, v[4:5]
	s_delay_alu instid0(VALU_DEP_1) | instskip(SKIP_1) | instid1(VALU_DEP_1)
	v_mad_u32 v3, v10, v10, v10
	v_ashrrev_i32_e32 v11, 31, v10
	v_mul_u64_e32 v[6:7], s[8:9], v[10:11]
	v_mul_u64_e32 v[10:11], s[16:17], v[10:11]
	s_delay_alu instid0(VALU_DEP_4) | instskip(NEXT) | instid1(VALU_DEP_1)
	v_lshrrev_b32_e32 v4, 31, v3
	v_add_nc_u32_e32 v3, v3, v4
	s_delay_alu instid0(VALU_DEP_1) | instskip(NEXT) | instid1(VALU_DEP_1)
	v_ashrrev_i32_e32 v3, 1, v3
	v_sub_nc_u32_e32 v12, v2, v3
	s_delay_alu instid0(VALU_DEP_1) | instskip(NEXT) | instid1(VALU_DEP_1)
	v_ashrrev_i32_e32 v13, 31, v12
	v_mul_u64_e32 v[2:3], s[8:9], v[12:13]
	v_lshl_add_u64 v[6:7], v[6:7], 4, s[28:29]
	global_load_b128 v[6:9], v[6:7], off
	v_lshl_add_u64 v[2:3], v[2:3], 4, s[28:29]
	s_mul_u64 s[28:29], s[18:19], s[2:3]
	s_delay_alu instid0(SALU_CYCLE_1) | instskip(SKIP_2) | instid1(SALU_CYCLE_1)
	s_lshl_b64 s[28:29], s[28:29], 4
	global_load_b128 v[2:5], v[2:3], off
	s_add_nc_u64 s[28:29], s[6:7], s[28:29]
	v_lshl_add_u64 v[10:11], v[10:11], 4, s[28:29]
	s_wait_loadcnt 0x0
	v_mul_f64_e32 v[16:17], s[22:23], v[4:5]
	v_mul_f64_e32 v[4:5], s[24:25], v[4:5]
	s_delay_alu instid0(VALU_DEP_2) | instskip(SKIP_1) | instid1(VALU_DEP_2)
	v_fmac_f64_e32 v[16:17], s[24:25], v[2:3]
	s_wait_xcnt 0x0
	v_fma_f64 v[2:3], s[22:23], v[2:3], -v[4:5]
	v_lshl_add_u64 v[14:15], v[12:13], 4, v[10:11]
	global_load_b128 v[10:13], v[14:15], off
	v_mul_f64_e32 v[4:5], v[8:9], v[16:17]
	v_mul_f64_e32 v[16:17], v[6:7], v[16:17]
	s_delay_alu instid0(VALU_DEP_2) | instskip(NEXT) | instid1(VALU_DEP_2)
	v_fma_f64 v[4:5], v[6:7], v[2:3], -v[4:5]
	v_fmac_f64_e32 v[16:17], v[8:9], v[2:3]
	s_wait_loadcnt 0x0
	s_delay_alu instid0(VALU_DEP_2) | instskip(NEXT) | instid1(VALU_DEP_2)
	v_add_f64_e32 v[2:3], v[10:11], v[4:5]
	v_add_f64_e32 v[4:5], v[16:17], v[12:13]
	global_store_b128 v[14:15], v[2:5], off
	s_branch .LBB29_2
.LBB29_7:
	s_endpgm
	.section	.rodata,"a",@progbits
	.p2align	6, 0x0
	.amdhsa_kernel _ZL18rocblas_syr_kernelILb1ELi1024E19rocblas_complex_numIdES1_PKS1_PS1_EvimT2_lT3_lllT4_llli
		.amdhsa_group_segment_fixed_size 0
		.amdhsa_private_segment_fixed_size 0
		.amdhsa_kernarg_size 368
		.amdhsa_user_sgpr_count 2
		.amdhsa_user_sgpr_dispatch_ptr 0
		.amdhsa_user_sgpr_queue_ptr 0
		.amdhsa_user_sgpr_kernarg_segment_ptr 1
		.amdhsa_user_sgpr_dispatch_id 0
		.amdhsa_user_sgpr_kernarg_preload_length 0
		.amdhsa_user_sgpr_kernarg_preload_offset 0
		.amdhsa_user_sgpr_private_segment_size 0
		.amdhsa_wavefront_size32 1
		.amdhsa_uses_dynamic_stack 0
		.amdhsa_enable_private_segment 0
		.amdhsa_system_sgpr_workgroup_id_x 1
		.amdhsa_system_sgpr_workgroup_id_y 0
		.amdhsa_system_sgpr_workgroup_id_z 1
		.amdhsa_system_sgpr_workgroup_info 0
		.amdhsa_system_vgpr_workitem_id 0
		.amdhsa_next_free_vgpr 18
		.amdhsa_next_free_sgpr 34
		.amdhsa_named_barrier_count 0
		.amdhsa_reserve_vcc 1
		.amdhsa_float_round_mode_32 0
		.amdhsa_float_round_mode_16_64 0
		.amdhsa_float_denorm_mode_32 3
		.amdhsa_float_denorm_mode_16_64 3
		.amdhsa_fp16_overflow 0
		.amdhsa_memory_ordered 1
		.amdhsa_forward_progress 1
		.amdhsa_inst_pref_size 6
		.amdhsa_round_robin_scheduling 0
		.amdhsa_exception_fp_ieee_invalid_op 0
		.amdhsa_exception_fp_denorm_src 0
		.amdhsa_exception_fp_ieee_div_zero 0
		.amdhsa_exception_fp_ieee_overflow 0
		.amdhsa_exception_fp_ieee_underflow 0
		.amdhsa_exception_fp_ieee_inexact 0
		.amdhsa_exception_int_div_zero 0
	.end_amdhsa_kernel
	.section	.text._ZL18rocblas_syr_kernelILb1ELi1024E19rocblas_complex_numIdES1_PKS1_PS1_EvimT2_lT3_lllT4_llli,"axG",@progbits,_ZL18rocblas_syr_kernelILb1ELi1024E19rocblas_complex_numIdES1_PKS1_PS1_EvimT2_lT3_lllT4_llli,comdat
.Lfunc_end29:
	.size	_ZL18rocblas_syr_kernelILb1ELi1024E19rocblas_complex_numIdES1_PKS1_PS1_EvimT2_lT3_lllT4_llli, .Lfunc_end29-_ZL18rocblas_syr_kernelILb1ELi1024E19rocblas_complex_numIdES1_PKS1_PS1_EvimT2_lT3_lllT4_llli
                                        ; -- End function
	.set _ZL18rocblas_syr_kernelILb1ELi1024E19rocblas_complex_numIdES1_PKS1_PS1_EvimT2_lT3_lllT4_llli.num_vgpr, 18
	.set _ZL18rocblas_syr_kernelILb1ELi1024E19rocblas_complex_numIdES1_PKS1_PS1_EvimT2_lT3_lllT4_llli.num_agpr, 0
	.set _ZL18rocblas_syr_kernelILb1ELi1024E19rocblas_complex_numIdES1_PKS1_PS1_EvimT2_lT3_lllT4_llli.numbered_sgpr, 34
	.set _ZL18rocblas_syr_kernelILb1ELi1024E19rocblas_complex_numIdES1_PKS1_PS1_EvimT2_lT3_lllT4_llli.num_named_barrier, 0
	.set _ZL18rocblas_syr_kernelILb1ELi1024E19rocblas_complex_numIdES1_PKS1_PS1_EvimT2_lT3_lllT4_llli.private_seg_size, 0
	.set _ZL18rocblas_syr_kernelILb1ELi1024E19rocblas_complex_numIdES1_PKS1_PS1_EvimT2_lT3_lllT4_llli.uses_vcc, 1
	.set _ZL18rocblas_syr_kernelILb1ELi1024E19rocblas_complex_numIdES1_PKS1_PS1_EvimT2_lT3_lllT4_llli.uses_flat_scratch, 0
	.set _ZL18rocblas_syr_kernelILb1ELi1024E19rocblas_complex_numIdES1_PKS1_PS1_EvimT2_lT3_lllT4_llli.has_dyn_sized_stack, 0
	.set _ZL18rocblas_syr_kernelILb1ELi1024E19rocblas_complex_numIdES1_PKS1_PS1_EvimT2_lT3_lllT4_llli.has_recursion, 0
	.set _ZL18rocblas_syr_kernelILb1ELi1024E19rocblas_complex_numIdES1_PKS1_PS1_EvimT2_lT3_lllT4_llli.has_indirect_call, 0
	.section	.AMDGPU.csdata,"",@progbits
; Kernel info:
; codeLenInByte = 724
; TotalNumSgprs: 36
; NumVgprs: 18
; ScratchSize: 0
; MemoryBound: 0
; FloatMode: 240
; IeeeMode: 1
; LDSByteSize: 0 bytes/workgroup (compile time only)
; SGPRBlocks: 0
; VGPRBlocks: 1
; NumSGPRsForWavesPerEU: 36
; NumVGPRsForWavesPerEU: 18
; NamedBarCnt: 0
; Occupancy: 16
; WaveLimiterHint : 0
; COMPUTE_PGM_RSRC2:SCRATCH_EN: 0
; COMPUTE_PGM_RSRC2:USER_SGPR: 2
; COMPUTE_PGM_RSRC2:TRAP_HANDLER: 0
; COMPUTE_PGM_RSRC2:TGID_X_EN: 1
; COMPUTE_PGM_RSRC2:TGID_Y_EN: 0
; COMPUTE_PGM_RSRC2:TGID_Z_EN: 1
; COMPUTE_PGM_RSRC2:TIDIG_COMP_CNT: 0
	.section	.text._ZL23rocblas_syr_kernel_inc1ILb0ELi1024E19rocblas_complex_numIdES1_PKS1_PS1_EvimT2_lT3_llT4_llli,"axG",@progbits,_ZL23rocblas_syr_kernel_inc1ILb0ELi1024E19rocblas_complex_numIdES1_PKS1_PS1_EvimT2_lT3_llT4_llli,comdat
	.globl	_ZL23rocblas_syr_kernel_inc1ILb0ELi1024E19rocblas_complex_numIdES1_PKS1_PS1_EvimT2_lT3_llT4_llli ; -- Begin function _ZL23rocblas_syr_kernel_inc1ILb0ELi1024E19rocblas_complex_numIdES1_PKS1_PS1_EvimT2_lT3_llT4_llli
	.p2align	8
	.type	_ZL23rocblas_syr_kernel_inc1ILb0ELi1024E19rocblas_complex_numIdES1_PKS1_PS1_EvimT2_lT3_llT4_llli,@function
_ZL23rocblas_syr_kernel_inc1ILb0ELi1024E19rocblas_complex_numIdES1_PKS1_PS1_EvimT2_lT3_llT4_llli: ; @_ZL23rocblas_syr_kernel_inc1ILb0ELi1024E19rocblas_complex_numIdES1_PKS1_PS1_EvimT2_lT3_llT4_llli
; %bb.0:
	s_load_b32 s26, s[0:1], 0x60
	s_bfe_u32 s2, ttmp6, 0x40014
	s_lshr_b32 s3, ttmp7, 16
	s_add_co_i32 s2, s2, 1
	s_bfe_u32 s4, ttmp6, 0x40008
	s_mul_i32 s2, s3, s2
	s_getreg_b32 s27, hwreg(HW_REG_IB_STS2, 6, 4)
	s_add_co_i32 s4, s4, s2
	s_cmp_eq_u32 s27, 0
	s_cselect_b32 s2, s3, s4
	s_mov_b32 s3, 0
	s_wait_kmcnt 0x0
	s_cmp_ge_u32 s2, s26
	s_cbranch_scc1 .LBB30_7
; %bb.1:
	s_clause 0x5
	s_load_b128 s[12:15], s[0:1], 0x8
	s_load_b64 s[20:21], s[0:1], 0x18
	s_load_b32 s22, s[0:1], 0x0
	s_load_b128 s[16:19], s[0:1], 0x48
	s_load_b256 s[4:11], s[0:1], 0x28
	s_load_b64 s[24:25], s[0:1], 0x58
	s_bfe_u32 s23, ttmp6, 0x4000c
	s_and_b32 s28, ttmp6, 15
	s_add_co_i32 s23, s23, 1
	v_mov_b32_e32 v1, 0
	s_mul_i32 s23, ttmp9, s23
	s_wait_xcnt 0x0
	s_add_nc_u64 s[0:1], s[0:1], 0x68
	s_add_co_i32 s33, s28, s23
	s_wait_kmcnt 0x0
	s_ashr_i32 s23, s22, 31
	v_cmp_neq_f64_e64 s30, s[14:15], 0
	v_cmp_neq_f64_e64 s31, s[20:21], 0
	s_lshl_b64 s[16:17], s[16:17], 4
	s_lshl_b64 s[28:29], s[6:7], 4
	s_add_nc_u64 s[6:7], s[10:11], s[16:17]
	s_add_nc_u64 s[4:5], s[4:5], s[28:29]
	s_or_b32 s10, s30, s31
	s_cmp_eq_u32 s27, 0
	s_cselect_b32 s11, ttmp9, s33
	s_add_co_i32 s16, s22, -1
	s_branch .LBB30_4
.LBB30_2:                               ;   in Loop: Header=BB30_4 Depth=1
	s_wait_xcnt 0x0
	s_or_b32 exec_lo, exec_lo, s17
.LBB30_3:                               ;   in Loop: Header=BB30_4 Depth=1
	s_add_co_i32 s2, s2, 0x10000
	s_delay_alu instid0(SALU_CYCLE_1)
	s_cmp_lt_u32 s2, s26
	s_cbranch_scc0 .LBB30_7
.LBB30_4:                               ; =>This Inner Loop Header: Depth=1
	s_and_not1_b32 vcc_lo, exec_lo, s10
	s_cbranch_vccnz .LBB30_3
; %bb.5:                                ;   in Loop: Header=BB30_4 Depth=1
	s_load_b32 s17, s[0:1], 0xc
	s_wait_kmcnt 0x0
	s_and_b32 s17, s17, 0xffff
	s_delay_alu instid0(SALU_CYCLE_1) | instskip(SKIP_1) | instid1(VALU_DEP_1)
	v_mad_nc_u64_u32 v[2:3], s17, s11, v[0:1]
	s_mov_b32 s17, exec_lo
	v_cmpx_gt_u64_e64 s[12:13], v[2:3]
	s_cbranch_execz .LBB30_2
; %bb.6:                                ;   in Loop: Header=BB30_4 Depth=1
	v_not_b32_e32 v3, v3
	v_not_b32_e32 v2, v2
	s_mul_u64 s[28:29], s[8:9], s[2:3]
	s_delay_alu instid0(SALU_CYCLE_1) | instskip(NEXT) | instid1(VALU_DEP_1)
	s_lshl_b64 s[28:29], s[28:29], 4
	v_add_nc_u64_e32 v[2:3], s[12:13], v[2:3]
	s_add_nc_u64 s[28:29], s[4:5], s[28:29]
	s_delay_alu instid0(VALU_DEP_1) | instskip(SKIP_1) | instid1(VALU_DEP_2)
	v_lshlrev_b64_e32 v[4:5], 3, v[2:3]
	v_sub_nc_u32_e32 v2, s16, v2
	v_cvt_f64_u32_e32 v[6:7], v5
	s_delay_alu instid0(VALU_DEP_3) | instskip(NEXT) | instid1(VALU_DEP_1)
	v_or_b32_e32 v3, 1, v4
	v_cvt_f64_u32_e32 v[4:5], v3
	s_delay_alu instid0(VALU_DEP_3) | instskip(NEXT) | instid1(VALU_DEP_1)
	v_ldexp_f64 v[6:7], v[6:7], 32
	v_add_f64_e32 v[4:5], v[6:7], v[4:5]
	s_delay_alu instid0(VALU_DEP_1) | instskip(SKIP_1) | instid1(VALU_DEP_1)
	v_cmp_gt_f64_e32 vcc_lo, 0x10000000, v[4:5]
	v_cndmask_b32_e64 v3, 0, 0x100, vcc_lo
	v_ldexp_f64 v[4:5], v[4:5], v3
	v_cndmask_b32_e64 v3, 0, 0xffffff80, vcc_lo
	s_delay_alu instid0(VALU_DEP_2) | instskip(SKIP_1) | instid1(TRANS32_DEP_1)
	v_rsq_f64_e32 v[6:7], v[4:5]
	v_cmp_class_f64_e64 vcc_lo, v[4:5], 0x260
	v_mul_f64_e32 v[8:9], v[4:5], v[6:7]
	v_mul_f64_e32 v[6:7], 0.5, v[6:7]
	s_delay_alu instid0(VALU_DEP_1) | instskip(NEXT) | instid1(VALU_DEP_1)
	v_fma_f64 v[10:11], -v[6:7], v[8:9], 0.5
	v_fmac_f64_e32 v[8:9], v[8:9], v[10:11]
	v_fmac_f64_e32 v[6:7], v[6:7], v[10:11]
	s_delay_alu instid0(VALU_DEP_2) | instskip(NEXT) | instid1(VALU_DEP_1)
	v_fma_f64 v[10:11], -v[8:9], v[8:9], v[4:5]
	v_fmac_f64_e32 v[8:9], v[10:11], v[6:7]
	s_delay_alu instid0(VALU_DEP_1) | instskip(NEXT) | instid1(VALU_DEP_1)
	v_fma_f64 v[10:11], -v[8:9], v[8:9], v[4:5]
	v_fmac_f64_e32 v[8:9], v[10:11], v[6:7]
	s_delay_alu instid0(VALU_DEP_1) | instskip(NEXT) | instid1(VALU_DEP_1)
	v_ldexp_f64 v[6:7], v[8:9], v3
	v_dual_cndmask_b32 v5, v7, v5 :: v_dual_cndmask_b32 v4, v6, v4
	s_delay_alu instid0(VALU_DEP_1) | instskip(NEXT) | instid1(VALU_DEP_1)
	v_add_f64_e32 v[4:5], -1.0, v[4:5]
	v_mul_f64_e32 v[4:5], 0.5, v[4:5]
	s_delay_alu instid0(VALU_DEP_1) | instskip(NEXT) | instid1(VALU_DEP_1)
	v_cvt_i32_f64_e32 v10, v[4:5]
	v_mad_u32 v3, v10, v10, v10
	v_ashrrev_i32_e32 v11, 31, v10
	s_delay_alu instid0(VALU_DEP_1) | instskip(NEXT) | instid1(VALU_DEP_3)
	v_sub_nc_u64_e32 v[6:7], s[22:23], v[10:11]
	v_lshrrev_b32_e32 v4, 31, v3
	s_delay_alu instid0(VALU_DEP_2) | instskip(NEXT) | instid1(VALU_DEP_2)
	v_lshl_add_u64 v[6:7], v[6:7], 4, s[28:29]
	v_add_nc_u32_e32 v3, v3, v4
	global_load_b128 v[6:9], v[6:7], off offset:-16
	v_ashrrev_i32_e32 v3, 1, v3
	s_delay_alu instid0(VALU_DEP_1) | instskip(NEXT) | instid1(VALU_DEP_1)
	v_dual_add_nc_u32 v12, v2, v3 :: v_dual_sub_nc_u32 v10, s16, v10
	v_ashrrev_i32_e32 v13, 31, v12
	global_load_b128 v[2:5], v12, s[28:29] scale_offset
	v_ashrrev_i32_e32 v11, 31, v10
	s_wait_xcnt 0x0
	s_mul_u64 s[28:29], s[24:25], s[2:3]
	s_delay_alu instid0(SALU_CYCLE_1) | instskip(NEXT) | instid1(SALU_CYCLE_1)
	s_lshl_b64 s[28:29], s[28:29], 4
	s_add_nc_u64 s[28:29], s[6:7], s[28:29]
	s_wait_loadcnt 0x0
	v_mul_f64_e32 v[16:17], s[14:15], v[4:5]
	v_mul_u64_e32 v[10:11], s[18:19], v[10:11]
	v_mul_f64_e32 v[4:5], s[20:21], v[4:5]
	s_delay_alu instid0(VALU_DEP_3) | instskip(NEXT) | instid1(VALU_DEP_3)
	v_fmac_f64_e32 v[16:17], s[20:21], v[2:3]
	v_lshl_add_u64 v[10:11], v[10:11], 4, s[28:29]
	s_delay_alu instid0(VALU_DEP_3) | instskip(NEXT) | instid1(VALU_DEP_2)
	v_fma_f64 v[2:3], s[14:15], v[2:3], -v[4:5]
	v_lshl_add_u64 v[14:15], v[12:13], 4, v[10:11]
	global_load_b128 v[10:13], v[14:15], off
	v_mul_f64_e32 v[4:5], v[8:9], v[16:17]
	v_mul_f64_e32 v[16:17], v[6:7], v[16:17]
	s_delay_alu instid0(VALU_DEP_2) | instskip(NEXT) | instid1(VALU_DEP_2)
	v_fma_f64 v[4:5], v[6:7], v[2:3], -v[4:5]
	v_fmac_f64_e32 v[16:17], v[8:9], v[2:3]
	s_wait_loadcnt 0x0
	s_delay_alu instid0(VALU_DEP_2) | instskip(NEXT) | instid1(VALU_DEP_2)
	v_add_f64_e32 v[2:3], v[10:11], v[4:5]
	v_add_f64_e32 v[4:5], v[16:17], v[12:13]
	global_store_b128 v[14:15], v[2:5], off
	s_branch .LBB30_2
.LBB30_7:
	s_endpgm
	.section	.rodata,"a",@progbits
	.p2align	6, 0x0
	.amdhsa_kernel _ZL23rocblas_syr_kernel_inc1ILb0ELi1024E19rocblas_complex_numIdES1_PKS1_PS1_EvimT2_lT3_llT4_llli
		.amdhsa_group_segment_fixed_size 0
		.amdhsa_private_segment_fixed_size 0
		.amdhsa_kernarg_size 360
		.amdhsa_user_sgpr_count 2
		.amdhsa_user_sgpr_dispatch_ptr 0
		.amdhsa_user_sgpr_queue_ptr 0
		.amdhsa_user_sgpr_kernarg_segment_ptr 1
		.amdhsa_user_sgpr_dispatch_id 0
		.amdhsa_user_sgpr_kernarg_preload_length 0
		.amdhsa_user_sgpr_kernarg_preload_offset 0
		.amdhsa_user_sgpr_private_segment_size 0
		.amdhsa_wavefront_size32 1
		.amdhsa_uses_dynamic_stack 0
		.amdhsa_enable_private_segment 0
		.amdhsa_system_sgpr_workgroup_id_x 1
		.amdhsa_system_sgpr_workgroup_id_y 0
		.amdhsa_system_sgpr_workgroup_id_z 1
		.amdhsa_system_sgpr_workgroup_info 0
		.amdhsa_system_vgpr_workitem_id 0
		.amdhsa_next_free_vgpr 18
		.amdhsa_next_free_sgpr 34
		.amdhsa_named_barrier_count 0
		.amdhsa_reserve_vcc 1
		.amdhsa_float_round_mode_32 0
		.amdhsa_float_round_mode_16_64 0
		.amdhsa_float_denorm_mode_32 3
		.amdhsa_float_denorm_mode_16_64 3
		.amdhsa_fp16_overflow 0
		.amdhsa_memory_ordered 1
		.amdhsa_forward_progress 1
		.amdhsa_inst_pref_size 7
		.amdhsa_round_robin_scheduling 0
		.amdhsa_exception_fp_ieee_invalid_op 0
		.amdhsa_exception_fp_denorm_src 0
		.amdhsa_exception_fp_ieee_div_zero 0
		.amdhsa_exception_fp_ieee_overflow 0
		.amdhsa_exception_fp_ieee_underflow 0
		.amdhsa_exception_fp_ieee_inexact 0
		.amdhsa_exception_int_div_zero 0
	.end_amdhsa_kernel
	.section	.text._ZL23rocblas_syr_kernel_inc1ILb0ELi1024E19rocblas_complex_numIdES1_PKS1_PS1_EvimT2_lT3_llT4_llli,"axG",@progbits,_ZL23rocblas_syr_kernel_inc1ILb0ELi1024E19rocblas_complex_numIdES1_PKS1_PS1_EvimT2_lT3_llT4_llli,comdat
.Lfunc_end30:
	.size	_ZL23rocblas_syr_kernel_inc1ILb0ELi1024E19rocblas_complex_numIdES1_PKS1_PS1_EvimT2_lT3_llT4_llli, .Lfunc_end30-_ZL23rocblas_syr_kernel_inc1ILb0ELi1024E19rocblas_complex_numIdES1_PKS1_PS1_EvimT2_lT3_llT4_llli
                                        ; -- End function
	.set _ZL23rocblas_syr_kernel_inc1ILb0ELi1024E19rocblas_complex_numIdES1_PKS1_PS1_EvimT2_lT3_llT4_llli.num_vgpr, 18
	.set _ZL23rocblas_syr_kernel_inc1ILb0ELi1024E19rocblas_complex_numIdES1_PKS1_PS1_EvimT2_lT3_llT4_llli.num_agpr, 0
	.set _ZL23rocblas_syr_kernel_inc1ILb0ELi1024E19rocblas_complex_numIdES1_PKS1_PS1_EvimT2_lT3_llT4_llli.numbered_sgpr, 34
	.set _ZL23rocblas_syr_kernel_inc1ILb0ELi1024E19rocblas_complex_numIdES1_PKS1_PS1_EvimT2_lT3_llT4_llli.num_named_barrier, 0
	.set _ZL23rocblas_syr_kernel_inc1ILb0ELi1024E19rocblas_complex_numIdES1_PKS1_PS1_EvimT2_lT3_llT4_llli.private_seg_size, 0
	.set _ZL23rocblas_syr_kernel_inc1ILb0ELi1024E19rocblas_complex_numIdES1_PKS1_PS1_EvimT2_lT3_llT4_llli.uses_vcc, 1
	.set _ZL23rocblas_syr_kernel_inc1ILb0ELi1024E19rocblas_complex_numIdES1_PKS1_PS1_EvimT2_lT3_llT4_llli.uses_flat_scratch, 0
	.set _ZL23rocblas_syr_kernel_inc1ILb0ELi1024E19rocblas_complex_numIdES1_PKS1_PS1_EvimT2_lT3_llT4_llli.has_dyn_sized_stack, 0
	.set _ZL23rocblas_syr_kernel_inc1ILb0ELi1024E19rocblas_complex_numIdES1_PKS1_PS1_EvimT2_lT3_llT4_llli.has_recursion, 0
	.set _ZL23rocblas_syr_kernel_inc1ILb0ELi1024E19rocblas_complex_numIdES1_PKS1_PS1_EvimT2_lT3_llT4_llli.has_indirect_call, 0
	.section	.AMDGPU.csdata,"",@progbits
; Kernel info:
; codeLenInByte = 776
; TotalNumSgprs: 36
; NumVgprs: 18
; ScratchSize: 0
; MemoryBound: 0
; FloatMode: 240
; IeeeMode: 1
; LDSByteSize: 0 bytes/workgroup (compile time only)
; SGPRBlocks: 0
; VGPRBlocks: 1
; NumSGPRsForWavesPerEU: 36
; NumVGPRsForWavesPerEU: 18
; NamedBarCnt: 0
; Occupancy: 16
; WaveLimiterHint : 0
; COMPUTE_PGM_RSRC2:SCRATCH_EN: 0
; COMPUTE_PGM_RSRC2:USER_SGPR: 2
; COMPUTE_PGM_RSRC2:TRAP_HANDLER: 0
; COMPUTE_PGM_RSRC2:TGID_X_EN: 1
; COMPUTE_PGM_RSRC2:TGID_Y_EN: 0
; COMPUTE_PGM_RSRC2:TGID_Z_EN: 1
; COMPUTE_PGM_RSRC2:TIDIG_COMP_CNT: 0
	.section	.text._ZL18rocblas_syr_kernelILb0ELi1024E19rocblas_complex_numIdES1_PKS1_PS1_EvimT2_lT3_lllT4_llli,"axG",@progbits,_ZL18rocblas_syr_kernelILb0ELi1024E19rocblas_complex_numIdES1_PKS1_PS1_EvimT2_lT3_lllT4_llli,comdat
	.globl	_ZL18rocblas_syr_kernelILb0ELi1024E19rocblas_complex_numIdES1_PKS1_PS1_EvimT2_lT3_lllT4_llli ; -- Begin function _ZL18rocblas_syr_kernelILb0ELi1024E19rocblas_complex_numIdES1_PKS1_PS1_EvimT2_lT3_lllT4_llli
	.p2align	8
	.type	_ZL18rocblas_syr_kernelILb0ELi1024E19rocblas_complex_numIdES1_PKS1_PS1_EvimT2_lT3_lllT4_llli,@function
_ZL18rocblas_syr_kernelILb0ELi1024E19rocblas_complex_numIdES1_PKS1_PS1_EvimT2_lT3_lllT4_llli: ; @_ZL18rocblas_syr_kernelILb0ELi1024E19rocblas_complex_numIdES1_PKS1_PS1_EvimT2_lT3_lllT4_llli
; %bb.0:
	s_load_b32 s26, s[0:1], 0x68
	s_bfe_u32 s2, ttmp6, 0x40014
	s_lshr_b32 s3, ttmp7, 16
	s_add_co_i32 s2, s2, 1
	s_bfe_u32 s4, ttmp6, 0x40008
	s_mul_i32 s2, s3, s2
	s_getreg_b32 s27, hwreg(HW_REG_IB_STS2, 6, 4)
	s_add_co_i32 s4, s4, s2
	s_cmp_eq_u32 s27, 0
	s_cselect_b32 s2, s3, s4
	s_mov_b32 s3, 0
	s_wait_kmcnt 0x0
	s_cmp_ge_u32 s2, s26
	s_cbranch_scc1 .LBB31_7
; %bb.1:
	s_clause 0x3
	s_load_b128 s[20:23], s[0:1], 0x8
	s_load_b64 s[24:25], s[0:1], 0x18
	s_load_b512 s[4:19], s[0:1], 0x28
	s_load_b32 s33, s[0:1], 0x0
	s_bfe_u32 s28, ttmp6, 0x4000c
	s_and_b32 s29, ttmp6, 15
	s_add_co_i32 s28, s28, 1
	v_mov_b32_e32 v1, 0
	s_mul_i32 s28, ttmp9, s28
	s_wait_xcnt 0x0
	s_add_nc_u64 s[0:1], s[0:1], 0x70
	s_add_co_i32 s34, s29, s28
	s_wait_kmcnt 0x0
	v_cmp_neq_f64_e64 s30, s[22:23], 0
	v_cmp_neq_f64_e64 s31, s[24:25], 0
	s_lshl_b64 s[14:15], s[14:15], 4
	s_lshl_b64 s[28:29], s[6:7], 4
	s_add_nc_u64 s[6:7], s[12:13], s[14:15]
	s_add_nc_u64 s[4:5], s[4:5], s[28:29]
	s_or_b32 s12, s30, s31
	s_cmp_eq_u32 s27, 0
	s_cselect_b32 s13, ttmp9, s34
	s_add_co_i32 s14, s33, -1
	s_branch .LBB31_4
.LBB31_2:                               ;   in Loop: Header=BB31_4 Depth=1
	s_wait_xcnt 0x0
	s_or_b32 exec_lo, exec_lo, s15
.LBB31_3:                               ;   in Loop: Header=BB31_4 Depth=1
	s_add_co_i32 s2, s2, 0x10000
	s_delay_alu instid0(SALU_CYCLE_1)
	s_cmp_lt_u32 s2, s26
	s_cbranch_scc0 .LBB31_7
.LBB31_4:                               ; =>This Inner Loop Header: Depth=1
	s_and_not1_b32 vcc_lo, exec_lo, s12
	s_cbranch_vccnz .LBB31_3
; %bb.5:                                ;   in Loop: Header=BB31_4 Depth=1
	s_load_b32 s15, s[0:1], 0xc
	s_wait_kmcnt 0x0
	s_and_b32 s15, s15, 0xffff
	s_delay_alu instid0(SALU_CYCLE_1) | instskip(SKIP_1) | instid1(VALU_DEP_1)
	v_mad_nc_u64_u32 v[2:3], s15, s13, v[0:1]
	s_mov_b32 s15, exec_lo
	v_cmpx_gt_u64_e64 s[20:21], v[2:3]
	s_cbranch_execz .LBB31_2
; %bb.6:                                ;   in Loop: Header=BB31_4 Depth=1
	v_not_b32_e32 v3, v3
	v_not_b32_e32 v2, v2
	s_mul_u64 s[28:29], s[10:11], s[2:3]
	s_delay_alu instid0(SALU_CYCLE_1) | instskip(NEXT) | instid1(VALU_DEP_1)
	s_lshl_b64 s[28:29], s[28:29], 4
	v_add_nc_u64_e32 v[2:3], s[20:21], v[2:3]
	s_add_nc_u64 s[28:29], s[4:5], s[28:29]
	s_delay_alu instid0(VALU_DEP_1) | instskip(SKIP_1) | instid1(VALU_DEP_2)
	v_lshlrev_b64_e32 v[4:5], 3, v[2:3]
	v_sub_nc_u32_e32 v2, s14, v2
	v_cvt_f64_u32_e32 v[6:7], v5
	s_delay_alu instid0(VALU_DEP_3) | instskip(NEXT) | instid1(VALU_DEP_1)
	v_or_b32_e32 v3, 1, v4
	v_cvt_f64_u32_e32 v[4:5], v3
	s_delay_alu instid0(VALU_DEP_3) | instskip(NEXT) | instid1(VALU_DEP_1)
	v_ldexp_f64 v[6:7], v[6:7], 32
	v_add_f64_e32 v[4:5], v[6:7], v[4:5]
	s_delay_alu instid0(VALU_DEP_1) | instskip(SKIP_1) | instid1(VALU_DEP_1)
	v_cmp_gt_f64_e32 vcc_lo, 0x10000000, v[4:5]
	v_cndmask_b32_e64 v3, 0, 0x100, vcc_lo
	v_ldexp_f64 v[4:5], v[4:5], v3
	v_cndmask_b32_e64 v3, 0, 0xffffff80, vcc_lo
	s_delay_alu instid0(VALU_DEP_2) | instskip(SKIP_1) | instid1(TRANS32_DEP_1)
	v_rsq_f64_e32 v[6:7], v[4:5]
	v_cmp_class_f64_e64 vcc_lo, v[4:5], 0x260
	v_mul_f64_e32 v[8:9], v[4:5], v[6:7]
	v_mul_f64_e32 v[6:7], 0.5, v[6:7]
	s_delay_alu instid0(VALU_DEP_1) | instskip(NEXT) | instid1(VALU_DEP_1)
	v_fma_f64 v[10:11], -v[6:7], v[8:9], 0.5
	v_fmac_f64_e32 v[8:9], v[8:9], v[10:11]
	v_fmac_f64_e32 v[6:7], v[6:7], v[10:11]
	s_delay_alu instid0(VALU_DEP_2) | instskip(NEXT) | instid1(VALU_DEP_1)
	v_fma_f64 v[10:11], -v[8:9], v[8:9], v[4:5]
	v_fmac_f64_e32 v[8:9], v[10:11], v[6:7]
	s_delay_alu instid0(VALU_DEP_1) | instskip(NEXT) | instid1(VALU_DEP_1)
	v_fma_f64 v[10:11], -v[8:9], v[8:9], v[4:5]
	v_fmac_f64_e32 v[8:9], v[10:11], v[6:7]
	s_delay_alu instid0(VALU_DEP_1) | instskip(NEXT) | instid1(VALU_DEP_1)
	v_ldexp_f64 v[6:7], v[8:9], v3
	v_dual_cndmask_b32 v5, v7, v5 :: v_dual_cndmask_b32 v4, v6, v4
	s_delay_alu instid0(VALU_DEP_1) | instskip(NEXT) | instid1(VALU_DEP_1)
	v_add_f64_e32 v[4:5], -1.0, v[4:5]
	v_mul_f64_e32 v[4:5], 0.5, v[4:5]
	s_delay_alu instid0(VALU_DEP_1) | instskip(NEXT) | instid1(VALU_DEP_1)
	v_cvt_i32_f64_e32 v6, v[4:5]
	v_mad_u32 v3, v6, v6, v6
	s_delay_alu instid0(VALU_DEP_1) | instskip(NEXT) | instid1(VALU_DEP_1)
	v_lshrrev_b32_e32 v4, 31, v3
	v_add_nc_u32_e32 v3, v3, v4
	s_delay_alu instid0(VALU_DEP_1) | instskip(NEXT) | instid1(VALU_DEP_1)
	v_ashrrev_i32_e32 v3, 1, v3
	v_add_nc_u32_e32 v10, v2, v3
	s_delay_alu instid0(VALU_DEP_1) | instskip(NEXT) | instid1(VALU_DEP_1)
	v_ashrrev_i32_e32 v11, 31, v10
	v_mul_u64_e32 v[2:3], s[8:9], v[10:11]
	s_delay_alu instid0(VALU_DEP_1) | instskip(SKIP_2) | instid1(VALU_DEP_1)
	v_lshl_add_u64 v[2:3], v[2:3], 4, s[28:29]
	global_load_b128 v[2:5], v[2:3], off
	v_sub_nc_u32_e32 v12, s14, v6
	v_ashrrev_i32_e32 v13, 31, v12
	s_delay_alu instid0(VALU_DEP_1) | instskip(NEXT) | instid1(VALU_DEP_1)
	v_mul_u64_e32 v[6:7], s[8:9], v[12:13]
	v_lshl_add_u64 v[6:7], v[6:7], 4, s[28:29]
	s_mul_u64 s[28:29], s[18:19], s[2:3]
	s_delay_alu instid0(SALU_CYCLE_1)
	s_lshl_b64 s[28:29], s[28:29], 4
	global_load_b128 v[6:9], v[6:7], off
	s_add_nc_u64 s[28:29], s[6:7], s[28:29]
	s_wait_loadcnt 0x1
	v_mul_f64_e32 v[16:17], s[22:23], v[4:5]
	v_mul_f64_e32 v[4:5], s[24:25], v[4:5]
	s_delay_alu instid0(VALU_DEP_2) | instskip(SKIP_1) | instid1(VALU_DEP_2)
	v_fmac_f64_e32 v[16:17], s[24:25], v[2:3]
	s_wait_xcnt 0x1
	v_fma_f64 v[2:3], s[22:23], v[2:3], -v[4:5]
	v_mul_u64_e32 v[12:13], s[16:17], v[12:13]
	s_wait_loadcnt 0x0
	s_delay_alu instid0(VALU_DEP_3) | instskip(SKIP_1) | instid1(VALU_DEP_3)
	v_mul_f64_e32 v[4:5], v[8:9], v[16:17]
	v_mul_f64_e32 v[16:17], v[6:7], v[16:17]
	v_lshl_add_u64 v[12:13], v[12:13], 4, s[28:29]
	s_delay_alu instid0(VALU_DEP_1) | instskip(SKIP_4) | instid1(VALU_DEP_2)
	v_lshl_add_u64 v[14:15], v[10:11], 4, v[12:13]
	global_load_b128 v[10:13], v[14:15], off
	v_fma_f64 v[4:5], v[6:7], v[2:3], -v[4:5]
	v_fmac_f64_e32 v[16:17], v[8:9], v[2:3]
	s_wait_loadcnt 0x0
	v_add_f64_e32 v[2:3], v[10:11], v[4:5]
	s_delay_alu instid0(VALU_DEP_2)
	v_add_f64_e32 v[4:5], v[16:17], v[12:13]
	global_store_b128 v[14:15], v[2:5], off
	s_branch .LBB31_2
.LBB31_7:
	s_endpgm
	.section	.rodata,"a",@progbits
	.p2align	6, 0x0
	.amdhsa_kernel _ZL18rocblas_syr_kernelILb0ELi1024E19rocblas_complex_numIdES1_PKS1_PS1_EvimT2_lT3_lllT4_llli
		.amdhsa_group_segment_fixed_size 0
		.amdhsa_private_segment_fixed_size 0
		.amdhsa_kernarg_size 368
		.amdhsa_user_sgpr_count 2
		.amdhsa_user_sgpr_dispatch_ptr 0
		.amdhsa_user_sgpr_queue_ptr 0
		.amdhsa_user_sgpr_kernarg_segment_ptr 1
		.amdhsa_user_sgpr_dispatch_id 0
		.amdhsa_user_sgpr_kernarg_preload_length 0
		.amdhsa_user_sgpr_kernarg_preload_offset 0
		.amdhsa_user_sgpr_private_segment_size 0
		.amdhsa_wavefront_size32 1
		.amdhsa_uses_dynamic_stack 0
		.amdhsa_enable_private_segment 0
		.amdhsa_system_sgpr_workgroup_id_x 1
		.amdhsa_system_sgpr_workgroup_id_y 0
		.amdhsa_system_sgpr_workgroup_id_z 1
		.amdhsa_system_sgpr_workgroup_info 0
		.amdhsa_system_vgpr_workitem_id 0
		.amdhsa_next_free_vgpr 18
		.amdhsa_next_free_sgpr 35
		.amdhsa_named_barrier_count 0
		.amdhsa_reserve_vcc 1
		.amdhsa_float_round_mode_32 0
		.amdhsa_float_round_mode_16_64 0
		.amdhsa_float_denorm_mode_32 3
		.amdhsa_float_denorm_mode_16_64 3
		.amdhsa_fp16_overflow 0
		.amdhsa_memory_ordered 1
		.amdhsa_forward_progress 1
		.amdhsa_inst_pref_size 7
		.amdhsa_round_robin_scheduling 0
		.amdhsa_exception_fp_ieee_invalid_op 0
		.amdhsa_exception_fp_denorm_src 0
		.amdhsa_exception_fp_ieee_div_zero 0
		.amdhsa_exception_fp_ieee_overflow 0
		.amdhsa_exception_fp_ieee_underflow 0
		.amdhsa_exception_fp_ieee_inexact 0
		.amdhsa_exception_int_div_zero 0
	.end_amdhsa_kernel
	.section	.text._ZL18rocblas_syr_kernelILb0ELi1024E19rocblas_complex_numIdES1_PKS1_PS1_EvimT2_lT3_lllT4_llli,"axG",@progbits,_ZL18rocblas_syr_kernelILb0ELi1024E19rocblas_complex_numIdES1_PKS1_PS1_EvimT2_lT3_lllT4_llli,comdat
.Lfunc_end31:
	.size	_ZL18rocblas_syr_kernelILb0ELi1024E19rocblas_complex_numIdES1_PKS1_PS1_EvimT2_lT3_lllT4_llli, .Lfunc_end31-_ZL18rocblas_syr_kernelILb0ELi1024E19rocblas_complex_numIdES1_PKS1_PS1_EvimT2_lT3_lllT4_llli
                                        ; -- End function
	.set _ZL18rocblas_syr_kernelILb0ELi1024E19rocblas_complex_numIdES1_PKS1_PS1_EvimT2_lT3_lllT4_llli.num_vgpr, 18
	.set _ZL18rocblas_syr_kernelILb0ELi1024E19rocblas_complex_numIdES1_PKS1_PS1_EvimT2_lT3_lllT4_llli.num_agpr, 0
	.set _ZL18rocblas_syr_kernelILb0ELi1024E19rocblas_complex_numIdES1_PKS1_PS1_EvimT2_lT3_lllT4_llli.numbered_sgpr, 35
	.set _ZL18rocblas_syr_kernelILb0ELi1024E19rocblas_complex_numIdES1_PKS1_PS1_EvimT2_lT3_lllT4_llli.num_named_barrier, 0
	.set _ZL18rocblas_syr_kernelILb0ELi1024E19rocblas_complex_numIdES1_PKS1_PS1_EvimT2_lT3_lllT4_llli.private_seg_size, 0
	.set _ZL18rocblas_syr_kernelILb0ELi1024E19rocblas_complex_numIdES1_PKS1_PS1_EvimT2_lT3_lllT4_llli.uses_vcc, 1
	.set _ZL18rocblas_syr_kernelILb0ELi1024E19rocblas_complex_numIdES1_PKS1_PS1_EvimT2_lT3_lllT4_llli.uses_flat_scratch, 0
	.set _ZL18rocblas_syr_kernelILb0ELi1024E19rocblas_complex_numIdES1_PKS1_PS1_EvimT2_lT3_lllT4_llli.has_dyn_sized_stack, 0
	.set _ZL18rocblas_syr_kernelILb0ELi1024E19rocblas_complex_numIdES1_PKS1_PS1_EvimT2_lT3_lllT4_llli.has_recursion, 0
	.set _ZL18rocblas_syr_kernelILb0ELi1024E19rocblas_complex_numIdES1_PKS1_PS1_EvimT2_lT3_lllT4_llli.has_indirect_call, 0
	.section	.AMDGPU.csdata,"",@progbits
; Kernel info:
; codeLenInByte = 772
; TotalNumSgprs: 37
; NumVgprs: 18
; ScratchSize: 0
; MemoryBound: 0
; FloatMode: 240
; IeeeMode: 1
; LDSByteSize: 0 bytes/workgroup (compile time only)
; SGPRBlocks: 0
; VGPRBlocks: 1
; NumSGPRsForWavesPerEU: 37
; NumVGPRsForWavesPerEU: 18
; NamedBarCnt: 0
; Occupancy: 16
; WaveLimiterHint : 0
; COMPUTE_PGM_RSRC2:SCRATCH_EN: 0
; COMPUTE_PGM_RSRC2:USER_SGPR: 2
; COMPUTE_PGM_RSRC2:TRAP_HANDLER: 0
; COMPUTE_PGM_RSRC2:TGID_X_EN: 1
; COMPUTE_PGM_RSRC2:TGID_Y_EN: 0
; COMPUTE_PGM_RSRC2:TGID_Z_EN: 1
; COMPUTE_PGM_RSRC2:TIDIG_COMP_CNT: 0
	.section	.text._ZL23rocblas_syr_kernel_inc1ILb1ELi1024EfPKfPKS1_PKPfEvimT2_lT3_llT4_llli,"axG",@progbits,_ZL23rocblas_syr_kernel_inc1ILb1ELi1024EfPKfPKS1_PKPfEvimT2_lT3_llT4_llli,comdat
	.globl	_ZL23rocblas_syr_kernel_inc1ILb1ELi1024EfPKfPKS1_PKPfEvimT2_lT3_llT4_llli ; -- Begin function _ZL23rocblas_syr_kernel_inc1ILb1ELi1024EfPKfPKS1_PKPfEvimT2_lT3_llT4_llli
	.p2align	8
	.type	_ZL23rocblas_syr_kernel_inc1ILb1ELi1024EfPKfPKS1_PKPfEvimT2_lT3_llT4_llli,@function
_ZL23rocblas_syr_kernel_inc1ILb1ELi1024EfPKfPKS1_PKPfEvimT2_lT3_llT4_llli: ; @_ZL23rocblas_syr_kernel_inc1ILb1ELi1024EfPKfPKS1_PKPfEvimT2_lT3_llT4_llli
; %bb.0:
	s_load_b32 s20, s[0:1], 0x58
	s_bfe_u32 s2, ttmp6, 0x40014
	s_lshr_b32 s3, ttmp7, 16
	s_add_co_i32 s2, s2, 1
	s_bfe_u32 s4, ttmp6, 0x40008
	s_mul_i32 s2, s3, s2
	s_getreg_b32 s18, hwreg(HW_REG_IB_STS2, 6, 4)
	s_add_co_i32 s4, s4, s2
	s_cmp_eq_u32 s18, 0
	s_cselect_b32 s2, s3, s4
	s_mov_b32 s3, 0
	s_wait_kmcnt 0x0
	s_cmp_ge_u32 s2, s20
	s_cbranch_scc1 .LBB32_7
; %bb.1:
	s_clause 0x3
	s_load_b128 s[12:15], s[0:1], 0x38
	s_load_b64 s[22:23], s[0:1], 0x28
	s_load_b256 s[4:11], s[0:1], 0x8
	s_load_b64 s[16:17], s[0:1], 0x48
	s_bfe_u32 s19, ttmp6, 0x4000c
	s_and_b32 s21, ttmp6, 15
	s_add_co_i32 s19, s19, 1
	v_mov_b32_e32 v1, 0
	s_mul_i32 s19, ttmp9, s19
	s_wait_xcnt 0x0
	s_add_nc_u64 s[0:1], s[0:1], 0x60
	s_add_co_i32 s21, s21, s19
	s_cmp_eq_u32 s18, 0
	s_cselect_b32 s21, ttmp9, s21
	s_wait_kmcnt 0x0
	s_lshl_b64 s[14:15], s[14:15], 2
	s_lshl_b64 s[18:19], s[22:23], 2
	s_branch .LBB32_4
.LBB32_2:                               ;   in Loop: Header=BB32_4 Depth=1
	s_wait_xcnt 0x0
	s_or_b32 exec_lo, exec_lo, s22
.LBB32_3:                               ;   in Loop: Header=BB32_4 Depth=1
	s_add_co_i32 s2, s2, 0x10000
	s_delay_alu instid0(SALU_CYCLE_1)
	s_cmp_lt_u32 s2, s20
	s_cbranch_scc0 .LBB32_7
.LBB32_4:                               ; =>This Inner Loop Header: Depth=1
	s_wait_xcnt 0x0
	s_mul_u64 s[22:23], s[8:9], s[2:3]
	s_delay_alu instid0(SALU_CYCLE_1) | instskip(NEXT) | instid1(SALU_CYCLE_1)
	s_lshl_b64 s[22:23], s[22:23], 2
	s_add_nc_u64 s[22:23], s[6:7], s[22:23]
	global_load_b32 v4, v1, s[22:23]
	s_wait_loadcnt 0x0
	v_cmp_eq_f32_e32 vcc_lo, 0, v4
	s_cbranch_vccnz .LBB32_3
; %bb.5:                                ;   in Loop: Header=BB32_4 Depth=1
	s_wait_xcnt 0x0
	s_load_b32 s22, s[0:1], 0xc
	s_wait_kmcnt 0x0
	s_and_b32 s22, s22, 0xffff
	s_delay_alu instid0(SALU_CYCLE_1) | instskip(SKIP_1) | instid1(VALU_DEP_1)
	v_mad_nc_u64_u32 v[2:3], s22, s21, v[0:1]
	s_mov_b32 s22, exec_lo
	v_cmpx_gt_u64_e64 s[4:5], v[2:3]
	s_cbranch_execz .LBB32_2
; %bb.6:                                ;   in Loop: Header=BB32_4 Depth=1
	v_lshlrev_b64_e32 v[6:7], 3, v[2:3]
	s_lshl_b64 s[24:25], s[2:3], 3
	s_delay_alu instid0(SALU_CYCLE_1) | instskip(SKIP_2) | instid1(VALU_DEP_1)
	s_add_nc_u64 s[26:27], s[12:13], s[24:25]
	s_add_nc_u64 s[24:25], s[10:11], s[24:25]
	s_load_b64 s[26:27], s[26:27], 0x0
	v_cvt_f64_u32_e32 v[8:9], v7
	s_delay_alu instid0(VALU_DEP_2) | instskip(SKIP_1) | instid1(VALU_DEP_1)
	v_or_b32_e32 v3, 1, v6
	s_load_b64 s[24:25], s[24:25], 0x0
	v_cvt_f64_u32_e32 v[6:7], v3
	s_wait_kmcnt 0x0
	s_wait_xcnt 0x0
	s_add_nc_u64 s[26:27], s[26:27], s[14:15]
	s_add_nc_u64 s[24:25], s[24:25], s[18:19]
	s_delay_alu instid0(VALU_DEP_3) | instskip(NEXT) | instid1(VALU_DEP_1)
	v_ldexp_f64 v[8:9], v[8:9], 32
	v_add_f64_e32 v[6:7], v[8:9], v[6:7]
	s_delay_alu instid0(VALU_DEP_1) | instskip(SKIP_1) | instid1(VALU_DEP_1)
	v_cmp_gt_f64_e32 vcc_lo, 0x10000000, v[6:7]
	v_cndmask_b32_e64 v3, 0, 0x100, vcc_lo
	v_ldexp_f64 v[6:7], v[6:7], v3
	v_cndmask_b32_e64 v3, 0, 0xffffff80, vcc_lo
	s_delay_alu instid0(VALU_DEP_2) | instskip(SKIP_1) | instid1(TRANS32_DEP_1)
	v_rsq_f64_e32 v[8:9], v[6:7]
	v_cmp_class_f64_e64 vcc_lo, v[6:7], 0x260
	v_mul_f64_e32 v[10:11], v[6:7], v[8:9]
	v_mul_f64_e32 v[8:9], 0.5, v[8:9]
	s_delay_alu instid0(VALU_DEP_1) | instskip(NEXT) | instid1(VALU_DEP_1)
	v_fma_f64 v[12:13], -v[8:9], v[10:11], 0.5
	v_fmac_f64_e32 v[10:11], v[10:11], v[12:13]
	v_fmac_f64_e32 v[8:9], v[8:9], v[12:13]
	s_delay_alu instid0(VALU_DEP_2) | instskip(NEXT) | instid1(VALU_DEP_1)
	v_fma_f64 v[12:13], -v[10:11], v[10:11], v[6:7]
	v_fmac_f64_e32 v[10:11], v[12:13], v[8:9]
	s_delay_alu instid0(VALU_DEP_1) | instskip(NEXT) | instid1(VALU_DEP_1)
	v_fma_f64 v[12:13], -v[10:11], v[10:11], v[6:7]
	v_fmac_f64_e32 v[10:11], v[12:13], v[8:9]
	s_delay_alu instid0(VALU_DEP_1) | instskip(NEXT) | instid1(VALU_DEP_1)
	v_ldexp_f64 v[8:9], v[10:11], v3
	v_dual_cndmask_b32 v7, v9, v7 :: v_dual_cndmask_b32 v6, v8, v6
	s_delay_alu instid0(VALU_DEP_1) | instskip(NEXT) | instid1(VALU_DEP_1)
	v_add_f64_e32 v[6:7], -1.0, v[6:7]
	v_mul_f64_e32 v[6:7], 0.5, v[6:7]
	s_delay_alu instid0(VALU_DEP_1) | instskip(NEXT) | instid1(VALU_DEP_1)
	v_cvt_i32_f64_e32 v6, v[6:7]
	v_ashrrev_i32_e32 v7, 31, v6
	v_mad_u32 v3, v6, v6, v6
	s_delay_alu instid0(VALU_DEP_2) | instskip(NEXT) | instid1(VALU_DEP_2)
	v_mul_u64_e32 v[8:9], s[16:17], v[6:7]
	v_lshrrev_b32_e32 v5, 31, v3
	s_delay_alu instid0(VALU_DEP_1) | instskip(NEXT) | instid1(VALU_DEP_1)
	v_add_nc_u32_e32 v3, v3, v5
	v_ashrrev_i32_e32 v3, 1, v3
	s_delay_alu instid0(VALU_DEP_1) | instskip(NEXT) | instid1(VALU_DEP_1)
	v_sub_nc_u32_e32 v2, v2, v3
	v_ashrrev_i32_e32 v3, 31, v2
	v_lshl_add_u64 v[8:9], v[8:9], 2, s[26:27]
	s_delay_alu instid0(VALU_DEP_1)
	v_lshl_add_u64 v[8:9], v[2:3], 2, v[8:9]
	s_clause 0x1
	flat_load_b32 v3, v2, s[24:25] scale_offset
	flat_load_b32 v5, v6, s[24:25] scale_offset
	flat_load_b32 v7, v[8:9]
	s_wait_loadcnt_dscnt 0x202
	s_wait_xcnt 0x2
	v_mul_f32_e32 v2, v4, v3
	s_wait_loadcnt_dscnt 0x0
	s_delay_alu instid0(VALU_DEP_1)
	v_fmac_f32_e32 v7, v2, v5
	flat_store_b32 v[8:9], v7
	s_branch .LBB32_2
.LBB32_7:
	s_endpgm
	.section	.rodata,"a",@progbits
	.p2align	6, 0x0
	.amdhsa_kernel _ZL23rocblas_syr_kernel_inc1ILb1ELi1024EfPKfPKS1_PKPfEvimT2_lT3_llT4_llli
		.amdhsa_group_segment_fixed_size 0
		.amdhsa_private_segment_fixed_size 0
		.amdhsa_kernarg_size 352
		.amdhsa_user_sgpr_count 2
		.amdhsa_user_sgpr_dispatch_ptr 0
		.amdhsa_user_sgpr_queue_ptr 0
		.amdhsa_user_sgpr_kernarg_segment_ptr 1
		.amdhsa_user_sgpr_dispatch_id 0
		.amdhsa_user_sgpr_kernarg_preload_length 0
		.amdhsa_user_sgpr_kernarg_preload_offset 0
		.amdhsa_user_sgpr_private_segment_size 0
		.amdhsa_wavefront_size32 1
		.amdhsa_uses_dynamic_stack 0
		.amdhsa_enable_private_segment 0
		.amdhsa_system_sgpr_workgroup_id_x 1
		.amdhsa_system_sgpr_workgroup_id_y 0
		.amdhsa_system_sgpr_workgroup_id_z 1
		.amdhsa_system_sgpr_workgroup_info 0
		.amdhsa_system_vgpr_workitem_id 0
		.amdhsa_next_free_vgpr 14
		.amdhsa_next_free_sgpr 28
		.amdhsa_named_barrier_count 0
		.amdhsa_reserve_vcc 1
		.amdhsa_float_round_mode_32 0
		.amdhsa_float_round_mode_16_64 0
		.amdhsa_float_denorm_mode_32 3
		.amdhsa_float_denorm_mode_16_64 3
		.amdhsa_fp16_overflow 0
		.amdhsa_memory_ordered 1
		.amdhsa_forward_progress 1
		.amdhsa_inst_pref_size 6
		.amdhsa_round_robin_scheduling 0
		.amdhsa_exception_fp_ieee_invalid_op 0
		.amdhsa_exception_fp_denorm_src 0
		.amdhsa_exception_fp_ieee_div_zero 0
		.amdhsa_exception_fp_ieee_overflow 0
		.amdhsa_exception_fp_ieee_underflow 0
		.amdhsa_exception_fp_ieee_inexact 0
		.amdhsa_exception_int_div_zero 0
	.end_amdhsa_kernel
	.section	.text._ZL23rocblas_syr_kernel_inc1ILb1ELi1024EfPKfPKS1_PKPfEvimT2_lT3_llT4_llli,"axG",@progbits,_ZL23rocblas_syr_kernel_inc1ILb1ELi1024EfPKfPKS1_PKPfEvimT2_lT3_llT4_llli,comdat
.Lfunc_end32:
	.size	_ZL23rocblas_syr_kernel_inc1ILb1ELi1024EfPKfPKS1_PKPfEvimT2_lT3_llT4_llli, .Lfunc_end32-_ZL23rocblas_syr_kernel_inc1ILb1ELi1024EfPKfPKS1_PKPfEvimT2_lT3_llT4_llli
                                        ; -- End function
	.set _ZL23rocblas_syr_kernel_inc1ILb1ELi1024EfPKfPKS1_PKPfEvimT2_lT3_llT4_llli.num_vgpr, 14
	.set _ZL23rocblas_syr_kernel_inc1ILb1ELi1024EfPKfPKS1_PKPfEvimT2_lT3_llT4_llli.num_agpr, 0
	.set _ZL23rocblas_syr_kernel_inc1ILb1ELi1024EfPKfPKS1_PKPfEvimT2_lT3_llT4_llli.numbered_sgpr, 28
	.set _ZL23rocblas_syr_kernel_inc1ILb1ELi1024EfPKfPKS1_PKPfEvimT2_lT3_llT4_llli.num_named_barrier, 0
	.set _ZL23rocblas_syr_kernel_inc1ILb1ELi1024EfPKfPKS1_PKPfEvimT2_lT3_llT4_llli.private_seg_size, 0
	.set _ZL23rocblas_syr_kernel_inc1ILb1ELi1024EfPKfPKS1_PKPfEvimT2_lT3_llT4_llli.uses_vcc, 1
	.set _ZL23rocblas_syr_kernel_inc1ILb1ELi1024EfPKfPKS1_PKPfEvimT2_lT3_llT4_llli.uses_flat_scratch, 1
	.set _ZL23rocblas_syr_kernel_inc1ILb1ELi1024EfPKfPKS1_PKPfEvimT2_lT3_llT4_llli.has_dyn_sized_stack, 0
	.set _ZL23rocblas_syr_kernel_inc1ILb1ELi1024EfPKfPKS1_PKPfEvimT2_lT3_llT4_llli.has_recursion, 0
	.set _ZL23rocblas_syr_kernel_inc1ILb1ELi1024EfPKfPKS1_PKPfEvimT2_lT3_llT4_llli.has_indirect_call, 0
	.section	.AMDGPU.csdata,"",@progbits
; Kernel info:
; codeLenInByte = 692
; TotalNumSgprs: 30
; NumVgprs: 14
; ScratchSize: 0
; MemoryBound: 0
; FloatMode: 240
; IeeeMode: 1
; LDSByteSize: 0 bytes/workgroup (compile time only)
; SGPRBlocks: 0
; VGPRBlocks: 0
; NumSGPRsForWavesPerEU: 30
; NumVGPRsForWavesPerEU: 14
; NamedBarCnt: 0
; Occupancy: 16
; WaveLimiterHint : 1
; COMPUTE_PGM_RSRC2:SCRATCH_EN: 0
; COMPUTE_PGM_RSRC2:USER_SGPR: 2
; COMPUTE_PGM_RSRC2:TRAP_HANDLER: 0
; COMPUTE_PGM_RSRC2:TGID_X_EN: 1
; COMPUTE_PGM_RSRC2:TGID_Y_EN: 0
; COMPUTE_PGM_RSRC2:TGID_Z_EN: 1
; COMPUTE_PGM_RSRC2:TIDIG_COMP_CNT: 0
	.section	.text._ZL18rocblas_syr_kernelILb1ELi1024EfPKfPKS1_PKPfEvimT2_lT3_lllT4_llli,"axG",@progbits,_ZL18rocblas_syr_kernelILb1ELi1024EfPKfPKS1_PKPfEvimT2_lT3_lllT4_llli,comdat
	.globl	_ZL18rocblas_syr_kernelILb1ELi1024EfPKfPKS1_PKPfEvimT2_lT3_lllT4_llli ; -- Begin function _ZL18rocblas_syr_kernelILb1ELi1024EfPKfPKS1_PKPfEvimT2_lT3_lllT4_llli
	.p2align	8
	.type	_ZL18rocblas_syr_kernelILb1ELi1024EfPKfPKS1_PKPfEvimT2_lT3_lllT4_llli,@function
_ZL18rocblas_syr_kernelILb1ELi1024EfPKfPKS1_PKPfEvimT2_lT3_lllT4_llli: ; @_ZL18rocblas_syr_kernelILb1ELi1024EfPKfPKS1_PKPfEvimT2_lT3_lllT4_llli
; %bb.0:
	s_load_b32 s22, s[0:1], 0x60
	s_bfe_u32 s2, ttmp6, 0x40014
	s_lshr_b32 s3, ttmp7, 16
	s_add_co_i32 s2, s2, 1
	s_bfe_u32 s4, ttmp6, 0x40008
	s_mul_i32 s2, s3, s2
	s_getreg_b32 s23, hwreg(HW_REG_IB_STS2, 6, 4)
	s_add_co_i32 s4, s4, s2
	s_cmp_eq_u32 s23, 0
	s_cselect_b32 s2, s3, s4
	s_mov_b32 s3, 0
	s_wait_kmcnt 0x0
	s_cmp_ge_u32 s2, s22
	s_cbranch_scc1 .LBB33_7
; %bb.1:
	s_clause 0x3
	s_load_b128 s[12:15], s[0:1], 0x40
	s_load_b128 s[16:19], s[0:1], 0x28
	s_load_b256 s[4:11], s[0:1], 0x8
	s_load_b64 s[20:21], s[0:1], 0x50
	s_bfe_u32 s24, ttmp6, 0x4000c
	s_and_b32 s25, ttmp6, 15
	s_add_co_i32 s24, s24, 1
	v_mov_b32_e32 v1, 0
	s_mul_i32 s24, ttmp9, s24
	s_wait_xcnt 0x0
	s_add_nc_u64 s[0:1], s[0:1], 0x68
	s_add_co_i32 s25, s25, s24
	s_cmp_eq_u32 s23, 0
	s_cselect_b32 s23, ttmp9, s25
	s_wait_kmcnt 0x0
	s_lshl_b64 s[14:15], s[14:15], 2
	s_lshl_b64 s[16:17], s[16:17], 2
	s_branch .LBB33_4
.LBB33_2:                               ;   in Loop: Header=BB33_4 Depth=1
	s_wait_xcnt 0x0
	s_or_b32 exec_lo, exec_lo, s24
.LBB33_3:                               ;   in Loop: Header=BB33_4 Depth=1
	s_add_co_i32 s2, s2, 0x10000
	s_delay_alu instid0(SALU_CYCLE_1)
	s_cmp_lt_u32 s2, s22
	s_cbranch_scc0 .LBB33_7
.LBB33_4:                               ; =>This Inner Loop Header: Depth=1
	s_wait_xcnt 0x0
	s_mul_u64 s[24:25], s[8:9], s[2:3]
	s_delay_alu instid0(SALU_CYCLE_1) | instskip(NEXT) | instid1(SALU_CYCLE_1)
	s_lshl_b64 s[24:25], s[24:25], 2
	s_add_nc_u64 s[24:25], s[6:7], s[24:25]
	global_load_b32 v4, v1, s[24:25]
	s_wait_loadcnt 0x0
	v_cmp_eq_f32_e32 vcc_lo, 0, v4
	s_cbranch_vccnz .LBB33_3
; %bb.5:                                ;   in Loop: Header=BB33_4 Depth=1
	s_wait_xcnt 0x0
	s_load_b32 s24, s[0:1], 0xc
	s_wait_kmcnt 0x0
	s_and_b32 s24, s24, 0xffff
	s_delay_alu instid0(SALU_CYCLE_1) | instskip(SKIP_1) | instid1(VALU_DEP_1)
	v_mad_nc_u64_u32 v[2:3], s24, s23, v[0:1]
	s_mov_b32 s24, exec_lo
	v_cmpx_gt_u64_e64 s[4:5], v[2:3]
	s_cbranch_execz .LBB33_2
; %bb.6:                                ;   in Loop: Header=BB33_4 Depth=1
	v_lshlrev_b64_e32 v[6:7], 3, v[2:3]
	s_lshl_b64 s[26:27], s[2:3], 3
	s_delay_alu instid0(SALU_CYCLE_1) | instskip(SKIP_3) | instid1(VALU_DEP_1)
	s_add_nc_u64 s[28:29], s[12:13], s[26:27]
	s_add_nc_u64 s[26:27], s[10:11], s[26:27]
	s_load_b64 s[30:31], s[28:29], 0x0
	s_load_b64 s[34:35], s[26:27], 0x0
	v_cvt_f64_u32_e32 v[8:9], v7
	v_or_b32_e32 v3, 1, v6
	s_delay_alu instid0(VALU_DEP_1) | instskip(SKIP_4) | instid1(VALU_DEP_3)
	v_cvt_f64_u32_e32 v[6:7], v3
	s_wait_kmcnt 0x0
	s_wait_xcnt 0x0
	s_add_nc_u64 s[26:27], s[30:31], s[14:15]
	s_add_nc_u64 s[28:29], s[34:35], s[16:17]
	v_ldexp_f64 v[8:9], v[8:9], 32
	s_delay_alu instid0(VALU_DEP_1) | instskip(NEXT) | instid1(VALU_DEP_1)
	v_add_f64_e32 v[6:7], v[8:9], v[6:7]
	v_cmp_gt_f64_e32 vcc_lo, 0x10000000, v[6:7]
	v_cndmask_b32_e64 v3, 0, 0x100, vcc_lo
	s_delay_alu instid0(VALU_DEP_1) | instskip(SKIP_1) | instid1(VALU_DEP_2)
	v_ldexp_f64 v[6:7], v[6:7], v3
	v_cndmask_b32_e64 v3, 0, 0xffffff80, vcc_lo
	v_rsq_f64_e32 v[8:9], v[6:7]
	v_cmp_class_f64_e64 vcc_lo, v[6:7], 0x260
	s_delay_alu instid0(TRANS32_DEP_1) | instskip(SKIP_1) | instid1(VALU_DEP_1)
	v_mul_f64_e32 v[10:11], v[6:7], v[8:9]
	v_mul_f64_e32 v[8:9], 0.5, v[8:9]
	v_fma_f64 v[12:13], -v[8:9], v[10:11], 0.5
	s_delay_alu instid0(VALU_DEP_1) | instskip(SKIP_1) | instid1(VALU_DEP_2)
	v_fmac_f64_e32 v[10:11], v[10:11], v[12:13]
	v_fmac_f64_e32 v[8:9], v[8:9], v[12:13]
	v_fma_f64 v[12:13], -v[10:11], v[10:11], v[6:7]
	s_delay_alu instid0(VALU_DEP_1) | instskip(NEXT) | instid1(VALU_DEP_1)
	v_fmac_f64_e32 v[10:11], v[12:13], v[8:9]
	v_fma_f64 v[12:13], -v[10:11], v[10:11], v[6:7]
	s_delay_alu instid0(VALU_DEP_1) | instskip(NEXT) | instid1(VALU_DEP_1)
	v_fmac_f64_e32 v[10:11], v[12:13], v[8:9]
	v_ldexp_f64 v[8:9], v[10:11], v3
	s_delay_alu instid0(VALU_DEP_1) | instskip(NEXT) | instid1(VALU_DEP_1)
	v_dual_cndmask_b32 v7, v9, v7 :: v_dual_cndmask_b32 v6, v8, v6
	v_add_f64_e32 v[6:7], -1.0, v[6:7]
	s_delay_alu instid0(VALU_DEP_1) | instskip(NEXT) | instid1(VALU_DEP_1)
	v_mul_f64_e32 v[6:7], 0.5, v[6:7]
	v_cvt_i32_f64_e32 v6, v[6:7]
	s_delay_alu instid0(VALU_DEP_1) | instskip(SKIP_1) | instid1(VALU_DEP_1)
	v_mad_u32 v3, v6, v6, v6
	v_ashrrev_i32_e32 v7, 31, v6
	v_mul_u64_e32 v[8:9], s[20:21], v[6:7]
	v_mul_u64_e32 v[6:7], s[18:19], v[6:7]
	s_delay_alu instid0(VALU_DEP_4) | instskip(NEXT) | instid1(VALU_DEP_1)
	v_lshrrev_b32_e32 v5, 31, v3
	v_add_nc_u32_e32 v3, v3, v5
	s_delay_alu instid0(VALU_DEP_1) | instskip(NEXT) | instid1(VALU_DEP_1)
	v_ashrrev_i32_e32 v3, 1, v3
	v_sub_nc_u32_e32 v2, v2, v3
	s_delay_alu instid0(VALU_DEP_1) | instskip(NEXT) | instid1(VALU_DEP_1)
	v_ashrrev_i32_e32 v3, 31, v2
	v_mul_u64_e32 v[10:11], s[18:19], v[2:3]
	v_lshl_add_u64 v[8:9], v[8:9], 2, s[26:27]
	v_lshl_add_u64 v[6:7], v[6:7], 2, s[28:29]
	s_delay_alu instid0(VALU_DEP_2) | instskip(NEXT) | instid1(VALU_DEP_4)
	v_lshl_add_u64 v[2:3], v[2:3], 2, v[8:9]
	v_lshl_add_u64 v[10:11], v[10:11], 2, s[28:29]
	s_clause 0x1
	flat_load_b32 v5, v[10:11]
	flat_load_b32 v8, v[6:7]
	;; [unrolled: 1-line block ×3, first 2 shown]
	s_wait_loadcnt_dscnt 0x202
	v_mul_f32_e32 v4, v4, v5
	s_wait_loadcnt_dscnt 0x0
	s_delay_alu instid0(VALU_DEP_1)
	v_fmac_f32_e32 v9, v4, v8
	flat_store_b32 v[2:3], v9
	s_branch .LBB33_2
.LBB33_7:
	s_endpgm
	.section	.rodata,"a",@progbits
	.p2align	6, 0x0
	.amdhsa_kernel _ZL18rocblas_syr_kernelILb1ELi1024EfPKfPKS1_PKPfEvimT2_lT3_lllT4_llli
		.amdhsa_group_segment_fixed_size 0
		.amdhsa_private_segment_fixed_size 0
		.amdhsa_kernarg_size 360
		.amdhsa_user_sgpr_count 2
		.amdhsa_user_sgpr_dispatch_ptr 0
		.amdhsa_user_sgpr_queue_ptr 0
		.amdhsa_user_sgpr_kernarg_segment_ptr 1
		.amdhsa_user_sgpr_dispatch_id 0
		.amdhsa_user_sgpr_kernarg_preload_length 0
		.amdhsa_user_sgpr_kernarg_preload_offset 0
		.amdhsa_user_sgpr_private_segment_size 0
		.amdhsa_wavefront_size32 1
		.amdhsa_uses_dynamic_stack 0
		.amdhsa_enable_private_segment 0
		.amdhsa_system_sgpr_workgroup_id_x 1
		.amdhsa_system_sgpr_workgroup_id_y 0
		.amdhsa_system_sgpr_workgroup_id_z 1
		.amdhsa_system_sgpr_workgroup_info 0
		.amdhsa_system_vgpr_workitem_id 0
		.amdhsa_next_free_vgpr 14
		.amdhsa_next_free_sgpr 36
		.amdhsa_named_barrier_count 0
		.amdhsa_reserve_vcc 1
		.amdhsa_float_round_mode_32 0
		.amdhsa_float_round_mode_16_64 0
		.amdhsa_float_denorm_mode_32 3
		.amdhsa_float_denorm_mode_16_64 3
		.amdhsa_fp16_overflow 0
		.amdhsa_memory_ordered 1
		.amdhsa_forward_progress 1
		.amdhsa_inst_pref_size 6
		.amdhsa_round_robin_scheduling 0
		.amdhsa_exception_fp_ieee_invalid_op 0
		.amdhsa_exception_fp_denorm_src 0
		.amdhsa_exception_fp_ieee_div_zero 0
		.amdhsa_exception_fp_ieee_overflow 0
		.amdhsa_exception_fp_ieee_underflow 0
		.amdhsa_exception_fp_ieee_inexact 0
		.amdhsa_exception_int_div_zero 0
	.end_amdhsa_kernel
	.section	.text._ZL18rocblas_syr_kernelILb1ELi1024EfPKfPKS1_PKPfEvimT2_lT3_lllT4_llli,"axG",@progbits,_ZL18rocblas_syr_kernelILb1ELi1024EfPKfPKS1_PKPfEvimT2_lT3_lllT4_llli,comdat
.Lfunc_end33:
	.size	_ZL18rocblas_syr_kernelILb1ELi1024EfPKfPKS1_PKPfEvimT2_lT3_lllT4_llli, .Lfunc_end33-_ZL18rocblas_syr_kernelILb1ELi1024EfPKfPKS1_PKPfEvimT2_lT3_lllT4_llli
                                        ; -- End function
	.set _ZL18rocblas_syr_kernelILb1ELi1024EfPKfPKS1_PKPfEvimT2_lT3_lllT4_llli.num_vgpr, 14
	.set _ZL18rocblas_syr_kernelILb1ELi1024EfPKfPKS1_PKPfEvimT2_lT3_lllT4_llli.num_agpr, 0
	.set _ZL18rocblas_syr_kernelILb1ELi1024EfPKfPKS1_PKPfEvimT2_lT3_lllT4_llli.numbered_sgpr, 36
	.set _ZL18rocblas_syr_kernelILb1ELi1024EfPKfPKS1_PKPfEvimT2_lT3_lllT4_llli.num_named_barrier, 0
	.set _ZL18rocblas_syr_kernelILb1ELi1024EfPKfPKS1_PKPfEvimT2_lT3_lllT4_llli.private_seg_size, 0
	.set _ZL18rocblas_syr_kernelILb1ELi1024EfPKfPKS1_PKPfEvimT2_lT3_lllT4_llli.uses_vcc, 1
	.set _ZL18rocblas_syr_kernelILb1ELi1024EfPKfPKS1_PKPfEvimT2_lT3_lllT4_llli.uses_flat_scratch, 1
	.set _ZL18rocblas_syr_kernelILb1ELi1024EfPKfPKS1_PKPfEvimT2_lT3_lllT4_llli.has_dyn_sized_stack, 0
	.set _ZL18rocblas_syr_kernelILb1ELi1024EfPKfPKS1_PKPfEvimT2_lT3_lllT4_llli.has_recursion, 0
	.set _ZL18rocblas_syr_kernelILb1ELi1024EfPKfPKS1_PKPfEvimT2_lT3_lllT4_llli.has_indirect_call, 0
	.section	.AMDGPU.csdata,"",@progbits
; Kernel info:
; codeLenInByte = 712
; TotalNumSgprs: 38
; NumVgprs: 14
; ScratchSize: 0
; MemoryBound: 0
; FloatMode: 240
; IeeeMode: 1
; LDSByteSize: 0 bytes/workgroup (compile time only)
; SGPRBlocks: 0
; VGPRBlocks: 0
; NumSGPRsForWavesPerEU: 38
; NumVGPRsForWavesPerEU: 14
; NamedBarCnt: 0
; Occupancy: 16
; WaveLimiterHint : 1
; COMPUTE_PGM_RSRC2:SCRATCH_EN: 0
; COMPUTE_PGM_RSRC2:USER_SGPR: 2
; COMPUTE_PGM_RSRC2:TRAP_HANDLER: 0
; COMPUTE_PGM_RSRC2:TGID_X_EN: 1
; COMPUTE_PGM_RSRC2:TGID_Y_EN: 0
; COMPUTE_PGM_RSRC2:TGID_Z_EN: 1
; COMPUTE_PGM_RSRC2:TIDIG_COMP_CNT: 0
	.section	.text._ZL23rocblas_syr_kernel_inc1ILb0ELi1024EfPKfPKS1_PKPfEvimT2_lT3_llT4_llli,"axG",@progbits,_ZL23rocblas_syr_kernel_inc1ILb0ELi1024EfPKfPKS1_PKPfEvimT2_lT3_llT4_llli,comdat
	.globl	_ZL23rocblas_syr_kernel_inc1ILb0ELi1024EfPKfPKS1_PKPfEvimT2_lT3_llT4_llli ; -- Begin function _ZL23rocblas_syr_kernel_inc1ILb0ELi1024EfPKfPKS1_PKPfEvimT2_lT3_llT4_llli
	.p2align	8
	.type	_ZL23rocblas_syr_kernel_inc1ILb0ELi1024EfPKfPKS1_PKPfEvimT2_lT3_llT4_llli,@function
_ZL23rocblas_syr_kernel_inc1ILb0ELi1024EfPKfPKS1_PKPfEvimT2_lT3_llT4_llli: ; @_ZL23rocblas_syr_kernel_inc1ILb0ELi1024EfPKfPKS1_PKPfEvimT2_lT3_llT4_llli
; %bb.0:
	s_load_b32 s22, s[0:1], 0x58
	s_bfe_u32 s2, ttmp6, 0x40014
	s_lshr_b32 s3, ttmp7, 16
	s_add_co_i32 s2, s2, 1
	s_bfe_u32 s4, ttmp6, 0x40008
	s_mul_i32 s2, s3, s2
	s_getreg_b32 s20, hwreg(HW_REG_IB_STS2, 6, 4)
	s_add_co_i32 s4, s4, s2
	s_cmp_eq_u32 s20, 0
	s_cselect_b32 s2, s3, s4
	s_mov_b32 s3, 0
	s_wait_kmcnt 0x0
	s_cmp_ge_u32 s2, s22
	s_cbranch_scc1 .LBB34_7
; %bb.1:
	s_clause 0x4
	s_load_b32 s16, s[0:1], 0x0
	s_load_b128 s[12:15], s[0:1], 0x38
	s_load_b64 s[26:27], s[0:1], 0x28
	s_load_b256 s[4:11], s[0:1], 0x8
	s_load_b64 s[18:19], s[0:1], 0x48
	s_bfe_u32 s17, ttmp6, 0x4000c
	s_and_b32 s21, ttmp6, 15
	s_add_co_i32 s17, s17, 1
	v_mov_b32_e32 v1, 0
	s_mul_i32 s17, ttmp9, s17
	s_wait_xcnt 0x0
	s_add_nc_u64 s[0:1], s[0:1], 0x60
	s_add_co_i32 s21, s21, s17
	s_wait_kmcnt 0x0
	s_ashr_i32 s17, s16, 31
	s_cmp_eq_u32 s20, 0
	s_cselect_b32 s23, ttmp9, s21
	s_add_co_i32 s24, s16, -1
	s_lshl_b64 s[14:15], s[14:15], 2
	s_lshl_b64 s[20:21], s[26:27], 2
	s_branch .LBB34_4
.LBB34_2:                               ;   in Loop: Header=BB34_4 Depth=1
	s_wait_xcnt 0x0
	s_or_b32 exec_lo, exec_lo, s25
.LBB34_3:                               ;   in Loop: Header=BB34_4 Depth=1
	s_add_co_i32 s2, s2, 0x10000
	s_delay_alu instid0(SALU_CYCLE_1)
	s_cmp_lt_u32 s2, s22
	s_cbranch_scc0 .LBB34_7
.LBB34_4:                               ; =>This Inner Loop Header: Depth=1
	s_wait_xcnt 0x0
	s_mul_u64 s[26:27], s[8:9], s[2:3]
	s_delay_alu instid0(SALU_CYCLE_1) | instskip(NEXT) | instid1(SALU_CYCLE_1)
	s_lshl_b64 s[26:27], s[26:27], 2
	s_add_nc_u64 s[26:27], s[6:7], s[26:27]
	global_load_b32 v4, v1, s[26:27]
	s_wait_loadcnt 0x0
	v_cmp_eq_f32_e32 vcc_lo, 0, v4
	s_cbranch_vccnz .LBB34_3
; %bb.5:                                ;   in Loop: Header=BB34_4 Depth=1
	s_load_b32 s25, s[0:1], 0xc
	s_wait_kmcnt 0x0
	s_and_b32 s25, s25, 0xffff
	s_delay_alu instid0(SALU_CYCLE_1) | instskip(SKIP_1) | instid1(VALU_DEP_1)
	v_mad_nc_u64_u32 v[2:3], s25, s23, v[0:1]
	s_mov_b32 s25, exec_lo
	v_cmpx_gt_u64_e64 s[4:5], v[2:3]
	s_cbranch_execz .LBB34_2
; %bb.6:                                ;   in Loop: Header=BB34_4 Depth=1
	v_not_b32_e32 v3, v3
	v_not_b32_e32 v2, v2
	s_lshl_b64 s[26:27], s[2:3], 3
	s_delay_alu instid0(SALU_CYCLE_1) | instskip(SKIP_1) | instid1(VALU_DEP_1)
	s_add_nc_u64 s[28:29], s[12:13], s[26:27]
	s_add_nc_u64 s[26:27], s[10:11], s[26:27]
	v_add_nc_u64_e32 v[2:3], s[4:5], v[2:3]
	s_load_b64 s[28:29], s[28:29], 0x0
	s_delay_alu instid0(VALU_DEP_1) | instskip(SKIP_2) | instid1(VALU_DEP_2)
	v_lshlrev_b64_e32 v[6:7], 3, v[2:3]
	s_load_b64 s[26:27], s[26:27], 0x0
	v_sub_nc_u32_e32 v2, s24, v2
	v_cvt_f64_u32_e32 v[8:9], v7
	s_delay_alu instid0(VALU_DEP_3) | instskip(NEXT) | instid1(VALU_DEP_1)
	v_or_b32_e32 v3, 1, v6
	v_cvt_f64_u32_e32 v[6:7], v3
	s_wait_kmcnt 0x0
	s_wait_xcnt 0x0
	s_add_nc_u64 s[28:29], s[28:29], s[14:15]
	s_add_nc_u64 s[26:27], s[26:27], s[20:21]
	s_delay_alu instid0(VALU_DEP_3) | instskip(NEXT) | instid1(VALU_DEP_1)
	v_ldexp_f64 v[8:9], v[8:9], 32
	v_add_f64_e32 v[6:7], v[8:9], v[6:7]
	s_delay_alu instid0(VALU_DEP_1) | instskip(SKIP_1) | instid1(VALU_DEP_1)
	v_cmp_gt_f64_e32 vcc_lo, 0x10000000, v[6:7]
	v_cndmask_b32_e64 v3, 0, 0x100, vcc_lo
	v_ldexp_f64 v[6:7], v[6:7], v3
	v_cndmask_b32_e64 v3, 0, 0xffffff80, vcc_lo
	s_delay_alu instid0(VALU_DEP_2) | instskip(SKIP_1) | instid1(TRANS32_DEP_1)
	v_rsq_f64_e32 v[8:9], v[6:7]
	v_cmp_class_f64_e64 vcc_lo, v[6:7], 0x260
	v_mul_f64_e32 v[10:11], v[6:7], v[8:9]
	v_mul_f64_e32 v[8:9], 0.5, v[8:9]
	s_delay_alu instid0(VALU_DEP_1) | instskip(NEXT) | instid1(VALU_DEP_1)
	v_fma_f64 v[12:13], -v[8:9], v[10:11], 0.5
	v_fmac_f64_e32 v[10:11], v[10:11], v[12:13]
	v_fmac_f64_e32 v[8:9], v[8:9], v[12:13]
	s_delay_alu instid0(VALU_DEP_2) | instskip(NEXT) | instid1(VALU_DEP_1)
	v_fma_f64 v[12:13], -v[10:11], v[10:11], v[6:7]
	v_fmac_f64_e32 v[10:11], v[12:13], v[8:9]
	s_delay_alu instid0(VALU_DEP_1) | instskip(NEXT) | instid1(VALU_DEP_1)
	v_fma_f64 v[12:13], -v[10:11], v[10:11], v[6:7]
	v_fmac_f64_e32 v[10:11], v[12:13], v[8:9]
	s_delay_alu instid0(VALU_DEP_1) | instskip(NEXT) | instid1(VALU_DEP_1)
	v_ldexp_f64 v[8:9], v[10:11], v3
	v_dual_cndmask_b32 v7, v9, v7 :: v_dual_cndmask_b32 v6, v8, v6
	s_delay_alu instid0(VALU_DEP_1) | instskip(NEXT) | instid1(VALU_DEP_1)
	v_add_f64_e32 v[6:7], -1.0, v[6:7]
	v_mul_f64_e32 v[6:7], 0.5, v[6:7]
	s_delay_alu instid0(VALU_DEP_1) | instskip(NEXT) | instid1(VALU_DEP_1)
	v_cvt_i32_f64_e32 v6, v[6:7]
	v_mad_u32 v3, v6, v6, v6
	s_delay_alu instid0(VALU_DEP_1) | instskip(NEXT) | instid1(VALU_DEP_1)
	v_lshrrev_b32_e32 v5, 31, v3
	v_dual_add_nc_u32 v3, v3, v5 :: v_dual_sub_nc_u32 v8, s24, v6
	s_delay_alu instid0(VALU_DEP_1) | instskip(NEXT) | instid1(VALU_DEP_1)
	v_dual_ashrrev_i32 v3, 1, v3 :: v_dual_ashrrev_i32 v9, 31, v8
	v_dual_ashrrev_i32 v7, 31, v6 :: v_dual_add_nc_u32 v2, v2, v3
	s_delay_alu instid0(VALU_DEP_2) | instskip(NEXT) | instid1(VALU_DEP_2)
	v_mul_u64_e32 v[8:9], s[18:19], v[8:9]
	v_sub_nc_u64_e32 v[6:7], s[16:17], v[6:7]
	s_delay_alu instid0(VALU_DEP_3) | instskip(NEXT) | instid1(VALU_DEP_2)
	v_ashrrev_i32_e32 v3, 31, v2
	v_lshl_add_u64 v[6:7], v[6:7], 2, s[26:27]
	s_delay_alu instid0(VALU_DEP_4) | instskip(NEXT) | instid1(VALU_DEP_1)
	v_lshl_add_u64 v[8:9], v[8:9], 2, s[28:29]
	v_lshl_add_u64 v[8:9], v[2:3], 2, v[8:9]
	s_clause 0x1
	flat_load_b32 v3, v2, s[26:27] scale_offset
	flat_load_b32 v5, v[6:7] offset:-4
	flat_load_b32 v10, v[8:9]
	s_wait_loadcnt_dscnt 0x202
	s_wait_xcnt 0x2
	v_mul_f32_e32 v2, v4, v3
	s_wait_loadcnt_dscnt 0x0
	s_delay_alu instid0(VALU_DEP_1)
	v_fmac_f32_e32 v10, v2, v5
	flat_store_b32 v[8:9], v10
	s_branch .LBB34_2
.LBB34_7:
	s_endpgm
	.section	.rodata,"a",@progbits
	.p2align	6, 0x0
	.amdhsa_kernel _ZL23rocblas_syr_kernel_inc1ILb0ELi1024EfPKfPKS1_PKPfEvimT2_lT3_llT4_llli
		.amdhsa_group_segment_fixed_size 0
		.amdhsa_private_segment_fixed_size 0
		.amdhsa_kernarg_size 352
		.amdhsa_user_sgpr_count 2
		.amdhsa_user_sgpr_dispatch_ptr 0
		.amdhsa_user_sgpr_queue_ptr 0
		.amdhsa_user_sgpr_kernarg_segment_ptr 1
		.amdhsa_user_sgpr_dispatch_id 0
		.amdhsa_user_sgpr_kernarg_preload_length 0
		.amdhsa_user_sgpr_kernarg_preload_offset 0
		.amdhsa_user_sgpr_private_segment_size 0
		.amdhsa_wavefront_size32 1
		.amdhsa_uses_dynamic_stack 0
		.amdhsa_enable_private_segment 0
		.amdhsa_system_sgpr_workgroup_id_x 1
		.amdhsa_system_sgpr_workgroup_id_y 0
		.amdhsa_system_sgpr_workgroup_id_z 1
		.amdhsa_system_sgpr_workgroup_info 0
		.amdhsa_system_vgpr_workitem_id 0
		.amdhsa_next_free_vgpr 14
		.amdhsa_next_free_sgpr 30
		.amdhsa_named_barrier_count 0
		.amdhsa_reserve_vcc 1
		.amdhsa_float_round_mode_32 0
		.amdhsa_float_round_mode_16_64 0
		.amdhsa_float_denorm_mode_32 3
		.amdhsa_float_denorm_mode_16_64 3
		.amdhsa_fp16_overflow 0
		.amdhsa_memory_ordered 1
		.amdhsa_forward_progress 1
		.amdhsa_inst_pref_size 6
		.amdhsa_round_robin_scheduling 0
		.amdhsa_exception_fp_ieee_invalid_op 0
		.amdhsa_exception_fp_denorm_src 0
		.amdhsa_exception_fp_ieee_div_zero 0
		.amdhsa_exception_fp_ieee_overflow 0
		.amdhsa_exception_fp_ieee_underflow 0
		.amdhsa_exception_fp_ieee_inexact 0
		.amdhsa_exception_int_div_zero 0
	.end_amdhsa_kernel
	.section	.text._ZL23rocblas_syr_kernel_inc1ILb0ELi1024EfPKfPKS1_PKPfEvimT2_lT3_llT4_llli,"axG",@progbits,_ZL23rocblas_syr_kernel_inc1ILb0ELi1024EfPKfPKS1_PKPfEvimT2_lT3_llT4_llli,comdat
.Lfunc_end34:
	.size	_ZL23rocblas_syr_kernel_inc1ILb0ELi1024EfPKfPKS1_PKPfEvimT2_lT3_llT4_llli, .Lfunc_end34-_ZL23rocblas_syr_kernel_inc1ILb0ELi1024EfPKfPKS1_PKPfEvimT2_lT3_llT4_llli
                                        ; -- End function
	.set _ZL23rocblas_syr_kernel_inc1ILb0ELi1024EfPKfPKS1_PKPfEvimT2_lT3_llT4_llli.num_vgpr, 14
	.set _ZL23rocblas_syr_kernel_inc1ILb0ELi1024EfPKfPKS1_PKPfEvimT2_lT3_llT4_llli.num_agpr, 0
	.set _ZL23rocblas_syr_kernel_inc1ILb0ELi1024EfPKfPKS1_PKPfEvimT2_lT3_llT4_llli.numbered_sgpr, 30
	.set _ZL23rocblas_syr_kernel_inc1ILb0ELi1024EfPKfPKS1_PKPfEvimT2_lT3_llT4_llli.num_named_barrier, 0
	.set _ZL23rocblas_syr_kernel_inc1ILb0ELi1024EfPKfPKS1_PKPfEvimT2_lT3_llT4_llli.private_seg_size, 0
	.set _ZL23rocblas_syr_kernel_inc1ILb0ELi1024EfPKfPKS1_PKPfEvimT2_lT3_llT4_llli.uses_vcc, 1
	.set _ZL23rocblas_syr_kernel_inc1ILb0ELi1024EfPKfPKS1_PKPfEvimT2_lT3_llT4_llli.uses_flat_scratch, 1
	.set _ZL23rocblas_syr_kernel_inc1ILb0ELi1024EfPKfPKS1_PKPfEvimT2_lT3_llT4_llli.has_dyn_sized_stack, 0
	.set _ZL23rocblas_syr_kernel_inc1ILb0ELi1024EfPKfPKS1_PKPfEvimT2_lT3_llT4_llli.has_recursion, 0
	.set _ZL23rocblas_syr_kernel_inc1ILb0ELi1024EfPKfPKS1_PKPfEvimT2_lT3_llT4_llli.has_indirect_call, 0
	.section	.AMDGPU.csdata,"",@progbits
; Kernel info:
; codeLenInByte = 760
; TotalNumSgprs: 32
; NumVgprs: 14
; ScratchSize: 0
; MemoryBound: 0
; FloatMode: 240
; IeeeMode: 1
; LDSByteSize: 0 bytes/workgroup (compile time only)
; SGPRBlocks: 0
; VGPRBlocks: 0
; NumSGPRsForWavesPerEU: 32
; NumVGPRsForWavesPerEU: 14
; NamedBarCnt: 0
; Occupancy: 16
; WaveLimiterHint : 1
; COMPUTE_PGM_RSRC2:SCRATCH_EN: 0
; COMPUTE_PGM_RSRC2:USER_SGPR: 2
; COMPUTE_PGM_RSRC2:TRAP_HANDLER: 0
; COMPUTE_PGM_RSRC2:TGID_X_EN: 1
; COMPUTE_PGM_RSRC2:TGID_Y_EN: 0
; COMPUTE_PGM_RSRC2:TGID_Z_EN: 1
; COMPUTE_PGM_RSRC2:TIDIG_COMP_CNT: 0
	.section	.text._ZL18rocblas_syr_kernelILb0ELi1024EfPKfPKS1_PKPfEvimT2_lT3_lllT4_llli,"axG",@progbits,_ZL18rocblas_syr_kernelILb0ELi1024EfPKfPKS1_PKPfEvimT2_lT3_lllT4_llli,comdat
	.globl	_ZL18rocblas_syr_kernelILb0ELi1024EfPKfPKS1_PKPfEvimT2_lT3_lllT4_llli ; -- Begin function _ZL18rocblas_syr_kernelILb0ELi1024EfPKfPKS1_PKPfEvimT2_lT3_lllT4_llli
	.p2align	8
	.type	_ZL18rocblas_syr_kernelILb0ELi1024EfPKfPKS1_PKPfEvimT2_lT3_lllT4_llli,@function
_ZL18rocblas_syr_kernelILb0ELi1024EfPKfPKS1_PKPfEvimT2_lT3_lllT4_llli: ; @_ZL18rocblas_syr_kernelILb0ELi1024EfPKfPKS1_PKPfEvimT2_lT3_lllT4_llli
; %bb.0:
	s_load_b32 s22, s[0:1], 0x60
	s_bfe_u32 s2, ttmp6, 0x40014
	s_lshr_b32 s3, ttmp7, 16
	s_add_co_i32 s2, s2, 1
	s_bfe_u32 s4, ttmp6, 0x40008
	s_mul_i32 s2, s3, s2
	s_getreg_b32 s23, hwreg(HW_REG_IB_STS2, 6, 4)
	s_add_co_i32 s4, s4, s2
	s_cmp_eq_u32 s23, 0
	s_cselect_b32 s2, s3, s4
	s_mov_b32 s3, 0
	s_wait_kmcnt 0x0
	s_cmp_ge_u32 s2, s22
	s_cbranch_scc1 .LBB35_7
; %bb.1:
	s_clause 0x4
	s_load_b32 s24, s[0:1], 0x0
	s_load_b128 s[12:15], s[0:1], 0x40
	s_load_b128 s[16:19], s[0:1], 0x28
	s_load_b256 s[4:11], s[0:1], 0x8
	s_load_b64 s[20:21], s[0:1], 0x50
	s_bfe_u32 s25, ttmp6, 0x4000c
	s_and_b32 s26, ttmp6, 15
	s_add_co_i32 s25, s25, 1
	v_mov_b32_e32 v1, 0
	s_mul_i32 s25, ttmp9, s25
	s_wait_xcnt 0x0
	s_add_nc_u64 s[0:1], s[0:1], 0x68
	s_add_co_i32 s26, s26, s25
	s_cmp_eq_u32 s23, 0
	s_cselect_b32 s23, ttmp9, s26
	s_wait_kmcnt 0x0
	s_add_co_i32 s24, s24, -1
	s_lshl_b64 s[14:15], s[14:15], 2
	s_lshl_b64 s[16:17], s[16:17], 2
	s_branch .LBB35_4
.LBB35_2:                               ;   in Loop: Header=BB35_4 Depth=1
	s_wait_xcnt 0x0
	s_or_b32 exec_lo, exec_lo, s25
.LBB35_3:                               ;   in Loop: Header=BB35_4 Depth=1
	s_add_co_i32 s2, s2, 0x10000
	s_delay_alu instid0(SALU_CYCLE_1)
	s_cmp_lt_u32 s2, s22
	s_cbranch_scc0 .LBB35_7
.LBB35_4:                               ; =>This Inner Loop Header: Depth=1
	s_wait_xcnt 0x0
	s_mul_u64 s[26:27], s[8:9], s[2:3]
	s_delay_alu instid0(SALU_CYCLE_1) | instskip(NEXT) | instid1(SALU_CYCLE_1)
	s_lshl_b64 s[26:27], s[26:27], 2
	s_add_nc_u64 s[26:27], s[6:7], s[26:27]
	global_load_b32 v4, v1, s[26:27]
	s_wait_loadcnt 0x0
	v_cmp_eq_f32_e32 vcc_lo, 0, v4
	s_cbranch_vccnz .LBB35_3
; %bb.5:                                ;   in Loop: Header=BB35_4 Depth=1
	s_load_b32 s25, s[0:1], 0xc
	s_wait_kmcnt 0x0
	s_and_b32 s25, s25, 0xffff
	s_delay_alu instid0(SALU_CYCLE_1) | instskip(SKIP_1) | instid1(VALU_DEP_1)
	v_mad_nc_u64_u32 v[2:3], s25, s23, v[0:1]
	s_mov_b32 s25, exec_lo
	v_cmpx_gt_u64_e64 s[4:5], v[2:3]
	s_cbranch_execz .LBB35_2
; %bb.6:                                ;   in Loop: Header=BB35_4 Depth=1
	v_not_b32_e32 v3, v3
	v_not_b32_e32 v2, v2
	s_lshl_b64 s[26:27], s[2:3], 3
	s_delay_alu instid0(SALU_CYCLE_1) | instskip(SKIP_1) | instid1(VALU_DEP_1)
	s_add_nc_u64 s[28:29], s[12:13], s[26:27]
	s_add_nc_u64 s[26:27], s[10:11], s[26:27]
	v_add_nc_u64_e32 v[2:3], s[4:5], v[2:3]
	s_load_b64 s[30:31], s[28:29], 0x0
	s_load_b64 s[34:35], s[26:27], 0x0
	s_delay_alu instid0(VALU_DEP_1) | instskip(NEXT) | instid1(VALU_DEP_1)
	v_lshlrev_b64_e32 v[6:7], 3, v[2:3]
	v_cvt_f64_u32_e32 v[8:9], v7
	s_delay_alu instid0(VALU_DEP_2) | instskip(SKIP_3) | instid1(VALU_DEP_1)
	v_or_b32_e32 v3, 1, v6
	s_wait_kmcnt 0x0
	s_wait_xcnt 0x0
	s_add_nc_u64 s[26:27], s[30:31], s[14:15]
	v_cvt_f64_u32_e32 v[6:7], v3
	s_add_nc_u64 s[28:29], s[34:35], s[16:17]
	s_delay_alu instid0(VALU_DEP_3) | instskip(NEXT) | instid1(VALU_DEP_1)
	v_ldexp_f64 v[8:9], v[8:9], 32
	v_add_f64_e32 v[6:7], v[8:9], v[6:7]
	s_delay_alu instid0(VALU_DEP_1) | instskip(SKIP_1) | instid1(VALU_DEP_1)
	v_cmp_gt_f64_e32 vcc_lo, 0x10000000, v[6:7]
	v_cndmask_b32_e64 v3, 0, 0x100, vcc_lo
	v_ldexp_f64 v[6:7], v[6:7], v3
	v_cndmask_b32_e64 v3, 0, 0xffffff80, vcc_lo
	s_delay_alu instid0(VALU_DEP_2) | instskip(SKIP_1) | instid1(TRANS32_DEP_1)
	v_rsq_f64_e32 v[8:9], v[6:7]
	v_cmp_class_f64_e64 vcc_lo, v[6:7], 0x260
	v_mul_f64_e32 v[10:11], v[6:7], v[8:9]
	v_mul_f64_e32 v[8:9], 0.5, v[8:9]
	s_delay_alu instid0(VALU_DEP_1) | instskip(NEXT) | instid1(VALU_DEP_1)
	v_fma_f64 v[12:13], -v[8:9], v[10:11], 0.5
	v_fmac_f64_e32 v[10:11], v[10:11], v[12:13]
	v_fmac_f64_e32 v[8:9], v[8:9], v[12:13]
	s_delay_alu instid0(VALU_DEP_2) | instskip(NEXT) | instid1(VALU_DEP_1)
	v_fma_f64 v[12:13], -v[10:11], v[10:11], v[6:7]
	v_fmac_f64_e32 v[10:11], v[12:13], v[8:9]
	s_delay_alu instid0(VALU_DEP_1) | instskip(NEXT) | instid1(VALU_DEP_1)
	v_fma_f64 v[12:13], -v[10:11], v[10:11], v[6:7]
	v_fmac_f64_e32 v[10:11], v[12:13], v[8:9]
	s_delay_alu instid0(VALU_DEP_1) | instskip(NEXT) | instid1(VALU_DEP_1)
	v_ldexp_f64 v[8:9], v[10:11], v3
	v_dual_cndmask_b32 v7, v9, v7 :: v_dual_cndmask_b32 v6, v8, v6
	s_delay_alu instid0(VALU_DEP_1) | instskip(NEXT) | instid1(VALU_DEP_1)
	v_add_f64_e32 v[6:7], -1.0, v[6:7]
	v_mul_f64_e32 v[6:7], 0.5, v[6:7]
	s_delay_alu instid0(VALU_DEP_1) | instskip(NEXT) | instid1(VALU_DEP_1)
	v_cvt_i32_f64_e32 v3, v[6:7]
	v_mad_u32 v5, v3, v3, v3
	s_delay_alu instid0(VALU_DEP_1) | instskip(NEXT) | instid1(VALU_DEP_1)
	v_lshrrev_b32_e32 v6, 31, v5
	v_add_nc_u32_e32 v5, v5, v6
	v_dual_sub_nc_u32 v6, s24, v2 :: v_dual_sub_nc_u32 v2, s24, v3
	s_delay_alu instid0(VALU_DEP_1) | instskip(NEXT) | instid1(VALU_DEP_1)
	v_dual_ashrrev_i32 v5, 1, v5 :: v_dual_ashrrev_i32 v3, 31, v2
	v_add_nc_u32_e32 v6, v6, v5
	s_delay_alu instid0(VALU_DEP_2) | instskip(SKIP_1) | instid1(VALU_DEP_3)
	v_mul_u64_e32 v[8:9], s[20:21], v[2:3]
	v_mul_u64_e32 v[2:3], s[18:19], v[2:3]
	v_ashrrev_i32_e32 v7, 31, v6
	s_delay_alu instid0(VALU_DEP_1) | instskip(NEXT) | instid1(VALU_DEP_4)
	v_mul_u64_e32 v[10:11], s[18:19], v[6:7]
	v_lshl_add_u64 v[8:9], v[8:9], 2, s[26:27]
	s_delay_alu instid0(VALU_DEP_4) | instskip(NEXT) | instid1(VALU_DEP_2)
	v_lshl_add_u64 v[2:3], v[2:3], 2, s[28:29]
	v_lshl_add_u64 v[6:7], v[6:7], 2, v[8:9]
	s_delay_alu instid0(VALU_DEP_4)
	v_lshl_add_u64 v[10:11], v[10:11], 2, s[28:29]
	s_clause 0x1
	flat_load_b32 v5, v[10:11]
	flat_load_b32 v8, v[2:3]
	;; [unrolled: 1-line block ×3, first 2 shown]
	s_wait_loadcnt_dscnt 0x202
	s_wait_xcnt 0x1
	v_mul_f32_e32 v2, v4, v5
	s_wait_loadcnt_dscnt 0x0
	s_delay_alu instid0(VALU_DEP_1)
	v_fmac_f32_e32 v9, v2, v8
	flat_store_b32 v[6:7], v9
	s_branch .LBB35_2
.LBB35_7:
	s_endpgm
	.section	.rodata,"a",@progbits
	.p2align	6, 0x0
	.amdhsa_kernel _ZL18rocblas_syr_kernelILb0ELi1024EfPKfPKS1_PKPfEvimT2_lT3_lllT4_llli
		.amdhsa_group_segment_fixed_size 0
		.amdhsa_private_segment_fixed_size 0
		.amdhsa_kernarg_size 360
		.amdhsa_user_sgpr_count 2
		.amdhsa_user_sgpr_dispatch_ptr 0
		.amdhsa_user_sgpr_queue_ptr 0
		.amdhsa_user_sgpr_kernarg_segment_ptr 1
		.amdhsa_user_sgpr_dispatch_id 0
		.amdhsa_user_sgpr_kernarg_preload_length 0
		.amdhsa_user_sgpr_kernarg_preload_offset 0
		.amdhsa_user_sgpr_private_segment_size 0
		.amdhsa_wavefront_size32 1
		.amdhsa_uses_dynamic_stack 0
		.amdhsa_enable_private_segment 0
		.amdhsa_system_sgpr_workgroup_id_x 1
		.amdhsa_system_sgpr_workgroup_id_y 0
		.amdhsa_system_sgpr_workgroup_id_z 1
		.amdhsa_system_sgpr_workgroup_info 0
		.amdhsa_system_vgpr_workitem_id 0
		.amdhsa_next_free_vgpr 14
		.amdhsa_next_free_sgpr 36
		.amdhsa_named_barrier_count 0
		.amdhsa_reserve_vcc 1
		.amdhsa_float_round_mode_32 0
		.amdhsa_float_round_mode_16_64 0
		.amdhsa_float_denorm_mode_32 3
		.amdhsa_float_denorm_mode_16_64 3
		.amdhsa_fp16_overflow 0
		.amdhsa_memory_ordered 1
		.amdhsa_forward_progress 1
		.amdhsa_inst_pref_size 6
		.amdhsa_round_robin_scheduling 0
		.amdhsa_exception_fp_ieee_invalid_op 0
		.amdhsa_exception_fp_denorm_src 0
		.amdhsa_exception_fp_ieee_div_zero 0
		.amdhsa_exception_fp_ieee_overflow 0
		.amdhsa_exception_fp_ieee_underflow 0
		.amdhsa_exception_fp_ieee_inexact 0
		.amdhsa_exception_int_div_zero 0
	.end_amdhsa_kernel
	.section	.text._ZL18rocblas_syr_kernelILb0ELi1024EfPKfPKS1_PKPfEvimT2_lT3_lllT4_llli,"axG",@progbits,_ZL18rocblas_syr_kernelILb0ELi1024EfPKfPKS1_PKPfEvimT2_lT3_lllT4_llli,comdat
.Lfunc_end35:
	.size	_ZL18rocblas_syr_kernelILb0ELi1024EfPKfPKS1_PKPfEvimT2_lT3_lllT4_llli, .Lfunc_end35-_ZL18rocblas_syr_kernelILb0ELi1024EfPKfPKS1_PKPfEvimT2_lT3_lllT4_llli
                                        ; -- End function
	.set _ZL18rocblas_syr_kernelILb0ELi1024EfPKfPKS1_PKPfEvimT2_lT3_lllT4_llli.num_vgpr, 14
	.set _ZL18rocblas_syr_kernelILb0ELi1024EfPKfPKS1_PKPfEvimT2_lT3_lllT4_llli.num_agpr, 0
	.set _ZL18rocblas_syr_kernelILb0ELi1024EfPKfPKS1_PKPfEvimT2_lT3_lllT4_llli.numbered_sgpr, 36
	.set _ZL18rocblas_syr_kernelILb0ELi1024EfPKfPKS1_PKPfEvimT2_lT3_lllT4_llli.num_named_barrier, 0
	.set _ZL18rocblas_syr_kernelILb0ELi1024EfPKfPKS1_PKPfEvimT2_lT3_lllT4_llli.private_seg_size, 0
	.set _ZL18rocblas_syr_kernelILb0ELi1024EfPKfPKS1_PKPfEvimT2_lT3_lllT4_llli.uses_vcc, 1
	.set _ZL18rocblas_syr_kernelILb0ELi1024EfPKfPKS1_PKPfEvimT2_lT3_lllT4_llli.uses_flat_scratch, 1
	.set _ZL18rocblas_syr_kernelILb0ELi1024EfPKfPKS1_PKPfEvimT2_lT3_lllT4_llli.has_dyn_sized_stack, 0
	.set _ZL18rocblas_syr_kernelILb0ELi1024EfPKfPKS1_PKPfEvimT2_lT3_lllT4_llli.has_recursion, 0
	.set _ZL18rocblas_syr_kernelILb0ELi1024EfPKfPKS1_PKPfEvimT2_lT3_lllT4_llli.has_indirect_call, 0
	.section	.AMDGPU.csdata,"",@progbits
; Kernel info:
; codeLenInByte = 764
; TotalNumSgprs: 38
; NumVgprs: 14
; ScratchSize: 0
; MemoryBound: 0
; FloatMode: 240
; IeeeMode: 1
; LDSByteSize: 0 bytes/workgroup (compile time only)
; SGPRBlocks: 0
; VGPRBlocks: 0
; NumSGPRsForWavesPerEU: 38
; NumVGPRsForWavesPerEU: 14
; NamedBarCnt: 0
; Occupancy: 16
; WaveLimiterHint : 1
; COMPUTE_PGM_RSRC2:SCRATCH_EN: 0
; COMPUTE_PGM_RSRC2:USER_SGPR: 2
; COMPUTE_PGM_RSRC2:TRAP_HANDLER: 0
; COMPUTE_PGM_RSRC2:TGID_X_EN: 1
; COMPUTE_PGM_RSRC2:TGID_Y_EN: 0
; COMPUTE_PGM_RSRC2:TGID_Z_EN: 1
; COMPUTE_PGM_RSRC2:TIDIG_COMP_CNT: 0
	.section	.text._ZL23rocblas_syr_kernel_inc1ILb1ELi1024EffPKPKfPKPfEvimT2_lT3_llT4_llli,"axG",@progbits,_ZL23rocblas_syr_kernel_inc1ILb1ELi1024EffPKPKfPKPfEvimT2_lT3_llT4_llli,comdat
	.globl	_ZL23rocblas_syr_kernel_inc1ILb1ELi1024EffPKPKfPKPfEvimT2_lT3_llT4_llli ; -- Begin function _ZL23rocblas_syr_kernel_inc1ILb1ELi1024EffPKPKfPKPfEvimT2_lT3_llT4_llli
	.p2align	8
	.type	_ZL23rocblas_syr_kernel_inc1ILb1ELi1024EffPKPKfPKPfEvimT2_lT3_llT4_llli,@function
_ZL23rocblas_syr_kernel_inc1ILb1ELi1024EffPKPKfPKPfEvimT2_lT3_llT4_llli: ; @_ZL23rocblas_syr_kernel_inc1ILb1ELi1024EffPKPKfPKPfEvimT2_lT3_llT4_llli
; %bb.0:
	s_load_b32 s15, s[0:1], 0x58
	s_bfe_u32 s2, ttmp6, 0x40014
	s_lshr_b32 s3, ttmp7, 16
	s_add_co_i32 s2, s2, 1
	s_bfe_u32 s4, ttmp6, 0x40008
	s_mul_i32 s2, s3, s2
	s_getreg_b32 s18, hwreg(HW_REG_IB_STS2, 6, 4)
	s_add_co_i32 s4, s4, s2
	s_cmp_eq_u32 s18, 0
	s_cselect_b32 s16, s3, s4
	s_wait_kmcnt 0x0
	s_cmp_ge_u32 s16, s15
	s_cbranch_scc1 .LBB36_7
; %bb.1:
	s_clause 0x3
	s_load_b96 s[12:14], s[0:1], 0x8
	s_load_b128 s[4:7], s[0:1], 0x38
	s_load_b128 s[8:11], s[0:1], 0x20
	s_load_b64 s[2:3], s[0:1], 0x48
	v_mov_b32_e32 v1, 0
	s_wait_xcnt 0x0
	s_add_nc_u64 s[0:1], s[0:1], 0x60
	s_wait_kmcnt 0x0
	s_cmp_neq_f32 s14, 0
	s_cselect_b32 s17, -1, 0
	s_bfe_u32 s19, ttmp6, 0x4000c
	s_and_b32 s20, ttmp6, 15
	s_add_co_i32 s19, s19, 1
	s_delay_alu instid0(SALU_CYCLE_1) | instskip(NEXT) | instid1(SALU_CYCLE_1)
	s_mul_i32 s19, ttmp9, s19
	s_add_co_i32 s20, s20, s19
	s_cmp_eq_u32 s18, 0
	s_cselect_b32 s18, ttmp9, s20
	s_lshl_b64 s[6:7], s[6:7], 2
	s_lshl_b64 s[10:11], s[10:11], 2
	s_branch .LBB36_4
.LBB36_2:                               ;   in Loop: Header=BB36_4 Depth=1
	s_wait_xcnt 0x0
	s_or_b32 exec_lo, exec_lo, s19
.LBB36_3:                               ;   in Loop: Header=BB36_4 Depth=1
	s_add_co_i32 s16, s16, 0x10000
	s_delay_alu instid0(SALU_CYCLE_1)
	s_cmp_lt_u32 s16, s15
	s_cbranch_scc0 .LBB36_7
.LBB36_4:                               ; =>This Inner Loop Header: Depth=1
	s_and_not1_b32 vcc_lo, exec_lo, s17
	s_cbranch_vccnz .LBB36_3
; %bb.5:                                ;   in Loop: Header=BB36_4 Depth=1
	s_load_b32 s19, s[0:1], 0xc
	s_wait_kmcnt 0x0
	s_and_b32 s19, s19, 0xffff
	s_delay_alu instid0(SALU_CYCLE_1) | instskip(SKIP_1) | instid1(VALU_DEP_1)
	v_mad_nc_u64_u32 v[2:3], s19, s18, v[0:1]
	s_mov_b32 s19, exec_lo
	v_cmpx_gt_u64_e64 s[12:13], v[2:3]
	s_cbranch_execz .LBB36_2
; %bb.6:                                ;   in Loop: Header=BB36_4 Depth=1
	v_lshlrev_b64_e32 v[4:5], 3, v[2:3]
	s_load_b64 s[20:21], s[4:5], s16 offset:0x0 scale_offset
	s_load_b64 s[22:23], s[8:9], s16 offset:0x0 scale_offset
	s_delay_alu instid0(VALU_DEP_1) | instskip(NEXT) | instid1(VALU_DEP_2)
	v_cvt_f64_u32_e32 v[6:7], v5
	v_or_b32_e32 v3, 1, v4
	s_delay_alu instid0(VALU_DEP_1) | instskip(SKIP_2) | instid1(VALU_DEP_3)
	v_cvt_f64_u32_e32 v[4:5], v3
	s_wait_kmcnt 0x0
	s_add_nc_u64 s[20:21], s[20:21], s[6:7]
	v_ldexp_f64 v[6:7], v[6:7], 32
	s_delay_alu instid0(VALU_DEP_1) | instskip(NEXT) | instid1(VALU_DEP_1)
	v_add_f64_e32 v[4:5], v[6:7], v[4:5]
	v_cmp_gt_f64_e32 vcc_lo, 0x10000000, v[4:5]
	v_cndmask_b32_e64 v3, 0, 0x100, vcc_lo
	s_delay_alu instid0(VALU_DEP_1) | instskip(SKIP_1) | instid1(VALU_DEP_2)
	v_ldexp_f64 v[4:5], v[4:5], v3
	v_cndmask_b32_e64 v3, 0, 0xffffff80, vcc_lo
	v_rsq_f64_e32 v[6:7], v[4:5]
	v_cmp_class_f64_e64 vcc_lo, v[4:5], 0x260
	s_delay_alu instid0(TRANS32_DEP_1) | instskip(SKIP_1) | instid1(VALU_DEP_1)
	v_mul_f64_e32 v[8:9], v[4:5], v[6:7]
	v_mul_f64_e32 v[6:7], 0.5, v[6:7]
	v_fma_f64 v[10:11], -v[6:7], v[8:9], 0.5
	s_delay_alu instid0(VALU_DEP_1) | instskip(SKIP_1) | instid1(VALU_DEP_2)
	v_fmac_f64_e32 v[8:9], v[8:9], v[10:11]
	v_fmac_f64_e32 v[6:7], v[6:7], v[10:11]
	v_fma_f64 v[10:11], -v[8:9], v[8:9], v[4:5]
	s_delay_alu instid0(VALU_DEP_1) | instskip(NEXT) | instid1(VALU_DEP_1)
	v_fmac_f64_e32 v[8:9], v[10:11], v[6:7]
	v_fma_f64 v[10:11], -v[8:9], v[8:9], v[4:5]
	s_delay_alu instid0(VALU_DEP_1) | instskip(NEXT) | instid1(VALU_DEP_1)
	v_fmac_f64_e32 v[8:9], v[10:11], v[6:7]
	v_ldexp_f64 v[6:7], v[8:9], v3
	s_delay_alu instid0(VALU_DEP_1) | instskip(NEXT) | instid1(VALU_DEP_1)
	v_dual_cndmask_b32 v5, v7, v5 :: v_dual_cndmask_b32 v4, v6, v4
	v_add_f64_e32 v[4:5], -1.0, v[4:5]
	s_delay_alu instid0(VALU_DEP_1) | instskip(NEXT) | instid1(VALU_DEP_1)
	v_mul_f64_e32 v[4:5], 0.5, v[4:5]
	v_cvt_i32_f64_e32 v4, v[4:5]
	s_delay_alu instid0(VALU_DEP_1) | instskip(SKIP_1) | instid1(VALU_DEP_2)
	v_ashrrev_i32_e32 v5, 31, v4
	v_mad_u32 v3, v4, v4, v4
	v_mul_u64_e32 v[6:7], s[2:3], v[4:5]
	s_delay_alu instid0(VALU_DEP_2) | instskip(NEXT) | instid1(VALU_DEP_1)
	v_lshrrev_b32_e32 v5, 31, v3
	v_add_nc_u32_e32 v3, v3, v5
	s_delay_alu instid0(VALU_DEP_1) | instskip(NEXT) | instid1(VALU_DEP_1)
	v_ashrrev_i32_e32 v3, 1, v3
	v_sub_nc_u32_e32 v2, v2, v3
	s_delay_alu instid0(VALU_DEP_1) | instskip(SKIP_2) | instid1(VALU_DEP_1)
	v_ashrrev_i32_e32 v3, 31, v2
	v_lshl_add_u64 v[6:7], v[6:7], 2, s[20:21]
	s_add_nc_u64 s[20:21], s[22:23], s[10:11]
	v_lshl_add_u64 v[6:7], v[2:3], 2, v[6:7]
	s_clause 0x1
	flat_load_b32 v3, v2, s[20:21] scale_offset
	flat_load_b32 v5, v4, s[20:21] scale_offset
	flat_load_b32 v8, v[6:7]
	s_wait_loadcnt_dscnt 0x202
	s_wait_xcnt 0x2
	v_mul_f32_e32 v2, s14, v3
	s_wait_loadcnt_dscnt 0x0
	s_delay_alu instid0(VALU_DEP_1)
	v_fmac_f32_e32 v8, v2, v5
	flat_store_b32 v[6:7], v8
	s_branch .LBB36_2
.LBB36_7:
	s_endpgm
	.section	.rodata,"a",@progbits
	.p2align	6, 0x0
	.amdhsa_kernel _ZL23rocblas_syr_kernel_inc1ILb1ELi1024EffPKPKfPKPfEvimT2_lT3_llT4_llli
		.amdhsa_group_segment_fixed_size 0
		.amdhsa_private_segment_fixed_size 0
		.amdhsa_kernarg_size 352
		.amdhsa_user_sgpr_count 2
		.amdhsa_user_sgpr_dispatch_ptr 0
		.amdhsa_user_sgpr_queue_ptr 0
		.amdhsa_user_sgpr_kernarg_segment_ptr 1
		.amdhsa_user_sgpr_dispatch_id 0
		.amdhsa_user_sgpr_kernarg_preload_length 0
		.amdhsa_user_sgpr_kernarg_preload_offset 0
		.amdhsa_user_sgpr_private_segment_size 0
		.amdhsa_wavefront_size32 1
		.amdhsa_uses_dynamic_stack 0
		.amdhsa_enable_private_segment 0
		.amdhsa_system_sgpr_workgroup_id_x 1
		.amdhsa_system_sgpr_workgroup_id_y 0
		.amdhsa_system_sgpr_workgroup_id_z 1
		.amdhsa_system_sgpr_workgroup_info 0
		.amdhsa_system_vgpr_workitem_id 0
		.amdhsa_next_free_vgpr 12
		.amdhsa_next_free_sgpr 24
		.amdhsa_named_barrier_count 0
		.amdhsa_reserve_vcc 1
		.amdhsa_float_round_mode_32 0
		.amdhsa_float_round_mode_16_64 0
		.amdhsa_float_denorm_mode_32 3
		.amdhsa_float_denorm_mode_16_64 3
		.amdhsa_fp16_overflow 0
		.amdhsa_memory_ordered 1
		.amdhsa_forward_progress 1
		.amdhsa_inst_pref_size 5
		.amdhsa_round_robin_scheduling 0
		.amdhsa_exception_fp_ieee_invalid_op 0
		.amdhsa_exception_fp_denorm_src 0
		.amdhsa_exception_fp_ieee_div_zero 0
		.amdhsa_exception_fp_ieee_overflow 0
		.amdhsa_exception_fp_ieee_underflow 0
		.amdhsa_exception_fp_ieee_inexact 0
		.amdhsa_exception_int_div_zero 0
	.end_amdhsa_kernel
	.section	.text._ZL23rocblas_syr_kernel_inc1ILb1ELi1024EffPKPKfPKPfEvimT2_lT3_llT4_llli,"axG",@progbits,_ZL23rocblas_syr_kernel_inc1ILb1ELi1024EffPKPKfPKPfEvimT2_lT3_llT4_llli,comdat
.Lfunc_end36:
	.size	_ZL23rocblas_syr_kernel_inc1ILb1ELi1024EffPKPKfPKPfEvimT2_lT3_llT4_llli, .Lfunc_end36-_ZL23rocblas_syr_kernel_inc1ILb1ELi1024EffPKPKfPKPfEvimT2_lT3_llT4_llli
                                        ; -- End function
	.set _ZL23rocblas_syr_kernel_inc1ILb1ELi1024EffPKPKfPKPfEvimT2_lT3_llT4_llli.num_vgpr, 12
	.set _ZL23rocblas_syr_kernel_inc1ILb1ELi1024EffPKPKfPKPfEvimT2_lT3_llT4_llli.num_agpr, 0
	.set _ZL23rocblas_syr_kernel_inc1ILb1ELi1024EffPKPKfPKPfEvimT2_lT3_llT4_llli.numbered_sgpr, 24
	.set _ZL23rocblas_syr_kernel_inc1ILb1ELi1024EffPKPKfPKPfEvimT2_lT3_llT4_llli.num_named_barrier, 0
	.set _ZL23rocblas_syr_kernel_inc1ILb1ELi1024EffPKPKfPKPfEvimT2_lT3_llT4_llli.private_seg_size, 0
	.set _ZL23rocblas_syr_kernel_inc1ILb1ELi1024EffPKPKfPKPfEvimT2_lT3_llT4_llli.uses_vcc, 1
	.set _ZL23rocblas_syr_kernel_inc1ILb1ELi1024EffPKPKfPKPfEvimT2_lT3_llT4_llli.uses_flat_scratch, 1
	.set _ZL23rocblas_syr_kernel_inc1ILb1ELi1024EffPKPKfPKPfEvimT2_lT3_llT4_llli.has_dyn_sized_stack, 0
	.set _ZL23rocblas_syr_kernel_inc1ILb1ELi1024EffPKPKfPKPfEvimT2_lT3_llT4_llli.has_recursion, 0
	.set _ZL23rocblas_syr_kernel_inc1ILb1ELi1024EffPKPKfPKPfEvimT2_lT3_llT4_llli.has_indirect_call, 0
	.section	.AMDGPU.csdata,"",@progbits
; Kernel info:
; codeLenInByte = 640
; TotalNumSgprs: 26
; NumVgprs: 12
; ScratchSize: 0
; MemoryBound: 0
; FloatMode: 240
; IeeeMode: 1
; LDSByteSize: 0 bytes/workgroup (compile time only)
; SGPRBlocks: 0
; VGPRBlocks: 0
; NumSGPRsForWavesPerEU: 26
; NumVGPRsForWavesPerEU: 12
; NamedBarCnt: 0
; Occupancy: 16
; WaveLimiterHint : 1
; COMPUTE_PGM_RSRC2:SCRATCH_EN: 0
; COMPUTE_PGM_RSRC2:USER_SGPR: 2
; COMPUTE_PGM_RSRC2:TRAP_HANDLER: 0
; COMPUTE_PGM_RSRC2:TGID_X_EN: 1
; COMPUTE_PGM_RSRC2:TGID_Y_EN: 0
; COMPUTE_PGM_RSRC2:TGID_Z_EN: 1
; COMPUTE_PGM_RSRC2:TIDIG_COMP_CNT: 0
	.section	.text._ZL18rocblas_syr_kernelILb1ELi1024EffPKPKfPKPfEvimT2_lT3_lllT4_llli,"axG",@progbits,_ZL18rocblas_syr_kernelILb1ELi1024EffPKPKfPKPfEvimT2_lT3_lllT4_llli,comdat
	.globl	_ZL18rocblas_syr_kernelILb1ELi1024EffPKPKfPKPfEvimT2_lT3_lllT4_llli ; -- Begin function _ZL18rocblas_syr_kernelILb1ELi1024EffPKPKfPKPfEvimT2_lT3_lllT4_llli
	.p2align	8
	.type	_ZL18rocblas_syr_kernelILb1ELi1024EffPKPKfPKPfEvimT2_lT3_lllT4_llli,@function
_ZL18rocblas_syr_kernelILb1ELi1024EffPKPKfPKPfEvimT2_lT3_lllT4_llli: ; @_ZL18rocblas_syr_kernelILb1ELi1024EffPKPKfPKPfEvimT2_lT3_lllT4_llli
; %bb.0:
	s_load_b32 s15, s[0:1], 0x60
	s_bfe_u32 s2, ttmp6, 0x40014
	s_lshr_b32 s3, ttmp7, 16
	s_add_co_i32 s2, s2, 1
	s_bfe_u32 s4, ttmp6, 0x40008
	s_mul_i32 s2, s3, s2
	s_getreg_b32 s20, hwreg(HW_REG_IB_STS2, 6, 4)
	s_add_co_i32 s4, s4, s2
	s_cmp_eq_u32 s20, 0
	s_cselect_b32 s18, s3, s4
	s_wait_kmcnt 0x0
	s_cmp_ge_u32 s18, s15
	s_cbranch_scc1 .LBB37_7
; %bb.1:
	s_clause 0x4
	s_load_b96 s[12:14], s[0:1], 0x8
	s_load_b128 s[4:7], s[0:1], 0x40
	s_load_b128 s[8:11], s[0:1], 0x20
	s_load_b64 s[2:3], s[0:1], 0x30
	s_load_b64 s[16:17], s[0:1], 0x50
	v_mov_b32_e32 v1, 0
	s_wait_xcnt 0x0
	s_add_nc_u64 s[0:1], s[0:1], 0x68
	s_wait_kmcnt 0x0
	s_cmp_neq_f32 s14, 0
	s_cselect_b32 s19, -1, 0
	s_bfe_u32 s21, ttmp6, 0x4000c
	s_and_b32 s22, ttmp6, 15
	s_add_co_i32 s21, s21, 1
	s_delay_alu instid0(SALU_CYCLE_1) | instskip(NEXT) | instid1(SALU_CYCLE_1)
	s_mul_i32 s21, ttmp9, s21
	s_add_co_i32 s22, s22, s21
	s_cmp_eq_u32 s20, 0
	s_cselect_b32 s20, ttmp9, s22
	s_lshl_b64 s[6:7], s[6:7], 2
	s_lshl_b64 s[10:11], s[10:11], 2
	s_branch .LBB37_4
.LBB37_2:                               ;   in Loop: Header=BB37_4 Depth=1
	s_wait_xcnt 0x0
	s_or_b32 exec_lo, exec_lo, s21
.LBB37_3:                               ;   in Loop: Header=BB37_4 Depth=1
	s_add_co_i32 s18, s18, 0x10000
	s_delay_alu instid0(SALU_CYCLE_1)
	s_cmp_lt_u32 s18, s15
	s_cbranch_scc0 .LBB37_7
.LBB37_4:                               ; =>This Inner Loop Header: Depth=1
	s_and_not1_b32 vcc_lo, exec_lo, s19
	s_cbranch_vccnz .LBB37_3
; %bb.5:                                ;   in Loop: Header=BB37_4 Depth=1
	s_load_b32 s21, s[0:1], 0xc
	s_wait_kmcnt 0x0
	s_and_b32 s21, s21, 0xffff
	s_delay_alu instid0(SALU_CYCLE_1) | instskip(SKIP_1) | instid1(VALU_DEP_1)
	v_mad_nc_u64_u32 v[2:3], s21, s20, v[0:1]
	s_mov_b32 s21, exec_lo
	v_cmpx_gt_u64_e64 s[12:13], v[2:3]
	s_cbranch_execz .LBB37_2
; %bb.6:                                ;   in Loop: Header=BB37_4 Depth=1
	v_lshlrev_b64_e32 v[4:5], 3, v[2:3]
	s_load_b64 s[22:23], s[4:5], s18 offset:0x0 scale_offset
	s_load_b64 s[24:25], s[8:9], s18 offset:0x0 scale_offset
	s_delay_alu instid0(VALU_DEP_1) | instskip(NEXT) | instid1(VALU_DEP_2)
	v_cvt_f64_u32_e32 v[6:7], v5
	v_or_b32_e32 v3, 1, v4
	s_delay_alu instid0(VALU_DEP_1) | instskip(SKIP_3) | instid1(VALU_DEP_3)
	v_cvt_f64_u32_e32 v[4:5], v3
	s_wait_kmcnt 0x0
	s_add_nc_u64 s[22:23], s[22:23], s[6:7]
	s_add_nc_u64 s[24:25], s[24:25], s[10:11]
	v_ldexp_f64 v[6:7], v[6:7], 32
	s_delay_alu instid0(VALU_DEP_1) | instskip(NEXT) | instid1(VALU_DEP_1)
	v_add_f64_e32 v[4:5], v[6:7], v[4:5]
	v_cmp_gt_f64_e32 vcc_lo, 0x10000000, v[4:5]
	v_cndmask_b32_e64 v3, 0, 0x100, vcc_lo
	s_delay_alu instid0(VALU_DEP_1) | instskip(SKIP_1) | instid1(VALU_DEP_2)
	v_ldexp_f64 v[4:5], v[4:5], v3
	v_cndmask_b32_e64 v3, 0, 0xffffff80, vcc_lo
	v_rsq_f64_e32 v[6:7], v[4:5]
	v_cmp_class_f64_e64 vcc_lo, v[4:5], 0x260
	s_delay_alu instid0(TRANS32_DEP_1) | instskip(SKIP_1) | instid1(VALU_DEP_1)
	v_mul_f64_e32 v[8:9], v[4:5], v[6:7]
	v_mul_f64_e32 v[6:7], 0.5, v[6:7]
	v_fma_f64 v[10:11], -v[6:7], v[8:9], 0.5
	s_delay_alu instid0(VALU_DEP_1) | instskip(SKIP_1) | instid1(VALU_DEP_2)
	v_fmac_f64_e32 v[8:9], v[8:9], v[10:11]
	v_fmac_f64_e32 v[6:7], v[6:7], v[10:11]
	v_fma_f64 v[10:11], -v[8:9], v[8:9], v[4:5]
	s_delay_alu instid0(VALU_DEP_1) | instskip(NEXT) | instid1(VALU_DEP_1)
	v_fmac_f64_e32 v[8:9], v[10:11], v[6:7]
	v_fma_f64 v[10:11], -v[8:9], v[8:9], v[4:5]
	s_delay_alu instid0(VALU_DEP_1) | instskip(NEXT) | instid1(VALU_DEP_1)
	v_fmac_f64_e32 v[8:9], v[10:11], v[6:7]
	v_ldexp_f64 v[6:7], v[8:9], v3
	s_delay_alu instid0(VALU_DEP_1) | instskip(NEXT) | instid1(VALU_DEP_1)
	v_dual_cndmask_b32 v5, v7, v5 :: v_dual_cndmask_b32 v4, v6, v4
	v_add_f64_e32 v[4:5], -1.0, v[4:5]
	s_delay_alu instid0(VALU_DEP_1) | instskip(NEXT) | instid1(VALU_DEP_1)
	v_mul_f64_e32 v[4:5], 0.5, v[4:5]
	v_cvt_i32_f64_e32 v4, v[4:5]
	s_delay_alu instid0(VALU_DEP_1) | instskip(NEXT) | instid1(VALU_DEP_1)
	v_mad_u32 v3, v4, v4, v4
	v_lshrrev_b32_e32 v5, 31, v3
	s_delay_alu instid0(VALU_DEP_1) | instskip(NEXT) | instid1(VALU_DEP_1)
	v_dual_add_nc_u32 v3, v3, v5 :: v_dual_ashrrev_i32 v5, 31, v4
	v_ashrrev_i32_e32 v3, 1, v3
	s_delay_alu instid0(VALU_DEP_2) | instskip(SKIP_1) | instid1(VALU_DEP_3)
	v_mul_u64_e32 v[6:7], s[16:17], v[4:5]
	v_mul_u64_e32 v[4:5], s[2:3], v[4:5]
	v_sub_nc_u32_e32 v2, v2, v3
	s_delay_alu instid0(VALU_DEP_1) | instskip(NEXT) | instid1(VALU_DEP_1)
	v_ashrrev_i32_e32 v3, 31, v2
	v_mul_u64_e32 v[8:9], s[2:3], v[2:3]
	v_lshl_add_u64 v[6:7], v[6:7], 2, s[22:23]
	v_lshl_add_u64 v[4:5], v[4:5], 2, s[24:25]
	s_delay_alu instid0(VALU_DEP_2) | instskip(NEXT) | instid1(VALU_DEP_4)
	v_lshl_add_u64 v[2:3], v[2:3], 2, v[6:7]
	v_lshl_add_u64 v[8:9], v[8:9], 2, s[24:25]
	s_clause 0x1
	flat_load_b32 v6, v[8:9]
	flat_load_b32 v7, v[4:5]
	;; [unrolled: 1-line block ×3, first 2 shown]
	s_wait_loadcnt_dscnt 0x202
	s_wait_xcnt 0x1
	v_mul_f32_e32 v4, s14, v6
	s_wait_loadcnt_dscnt 0x0
	s_delay_alu instid0(VALU_DEP_1)
	v_fmac_f32_e32 v10, v4, v7
	flat_store_b32 v[2:3], v10
	s_branch .LBB37_2
.LBB37_7:
	s_endpgm
	.section	.rodata,"a",@progbits
	.p2align	6, 0x0
	.amdhsa_kernel _ZL18rocblas_syr_kernelILb1ELi1024EffPKPKfPKPfEvimT2_lT3_lllT4_llli
		.amdhsa_group_segment_fixed_size 0
		.amdhsa_private_segment_fixed_size 0
		.amdhsa_kernarg_size 360
		.amdhsa_user_sgpr_count 2
		.amdhsa_user_sgpr_dispatch_ptr 0
		.amdhsa_user_sgpr_queue_ptr 0
		.amdhsa_user_sgpr_kernarg_segment_ptr 1
		.amdhsa_user_sgpr_dispatch_id 0
		.amdhsa_user_sgpr_kernarg_preload_length 0
		.amdhsa_user_sgpr_kernarg_preload_offset 0
		.amdhsa_user_sgpr_private_segment_size 0
		.amdhsa_wavefront_size32 1
		.amdhsa_uses_dynamic_stack 0
		.amdhsa_enable_private_segment 0
		.amdhsa_system_sgpr_workgroup_id_x 1
		.amdhsa_system_sgpr_workgroup_id_y 0
		.amdhsa_system_sgpr_workgroup_id_z 1
		.amdhsa_system_sgpr_workgroup_info 0
		.amdhsa_system_vgpr_workitem_id 0
		.amdhsa_next_free_vgpr 12
		.amdhsa_next_free_sgpr 26
		.amdhsa_named_barrier_count 0
		.amdhsa_reserve_vcc 1
		.amdhsa_float_round_mode_32 0
		.amdhsa_float_round_mode_16_64 0
		.amdhsa_float_denorm_mode_32 3
		.amdhsa_float_denorm_mode_16_64 3
		.amdhsa_fp16_overflow 0
		.amdhsa_memory_ordered 1
		.amdhsa_forward_progress 1
		.amdhsa_inst_pref_size 6
		.amdhsa_round_robin_scheduling 0
		.amdhsa_exception_fp_ieee_invalid_op 0
		.amdhsa_exception_fp_denorm_src 0
		.amdhsa_exception_fp_ieee_div_zero 0
		.amdhsa_exception_fp_ieee_overflow 0
		.amdhsa_exception_fp_ieee_underflow 0
		.amdhsa_exception_fp_ieee_inexact 0
		.amdhsa_exception_int_div_zero 0
	.end_amdhsa_kernel
	.section	.text._ZL18rocblas_syr_kernelILb1ELi1024EffPKPKfPKPfEvimT2_lT3_lllT4_llli,"axG",@progbits,_ZL18rocblas_syr_kernelILb1ELi1024EffPKPKfPKPfEvimT2_lT3_lllT4_llli,comdat
.Lfunc_end37:
	.size	_ZL18rocblas_syr_kernelILb1ELi1024EffPKPKfPKPfEvimT2_lT3_lllT4_llli, .Lfunc_end37-_ZL18rocblas_syr_kernelILb1ELi1024EffPKPKfPKPfEvimT2_lT3_lllT4_llli
                                        ; -- End function
	.set _ZL18rocblas_syr_kernelILb1ELi1024EffPKPKfPKPfEvimT2_lT3_lllT4_llli.num_vgpr, 12
	.set _ZL18rocblas_syr_kernelILb1ELi1024EffPKPKfPKPfEvimT2_lT3_lllT4_llli.num_agpr, 0
	.set _ZL18rocblas_syr_kernelILb1ELi1024EffPKPKfPKPfEvimT2_lT3_lllT4_llli.numbered_sgpr, 26
	.set _ZL18rocblas_syr_kernelILb1ELi1024EffPKPKfPKPfEvimT2_lT3_lllT4_llli.num_named_barrier, 0
	.set _ZL18rocblas_syr_kernelILb1ELi1024EffPKPKfPKPfEvimT2_lT3_lllT4_llli.private_seg_size, 0
	.set _ZL18rocblas_syr_kernelILb1ELi1024EffPKPKfPKPfEvimT2_lT3_lllT4_llli.uses_vcc, 1
	.set _ZL18rocblas_syr_kernelILb1ELi1024EffPKPKfPKPfEvimT2_lT3_lllT4_llli.uses_flat_scratch, 1
	.set _ZL18rocblas_syr_kernelILb1ELi1024EffPKPKfPKPfEvimT2_lT3_lllT4_llli.has_dyn_sized_stack, 0
	.set _ZL18rocblas_syr_kernelILb1ELi1024EffPKPKfPKPfEvimT2_lT3_lllT4_llli.has_recursion, 0
	.set _ZL18rocblas_syr_kernelILb1ELi1024EffPKPKfPKPfEvimT2_lT3_lllT4_llli.has_indirect_call, 0
	.section	.AMDGPU.csdata,"",@progbits
; Kernel info:
; codeLenInByte = 680
; TotalNumSgprs: 28
; NumVgprs: 12
; ScratchSize: 0
; MemoryBound: 0
; FloatMode: 240
; IeeeMode: 1
; LDSByteSize: 0 bytes/workgroup (compile time only)
; SGPRBlocks: 0
; VGPRBlocks: 0
; NumSGPRsForWavesPerEU: 28
; NumVGPRsForWavesPerEU: 12
; NamedBarCnt: 0
; Occupancy: 16
; WaveLimiterHint : 1
; COMPUTE_PGM_RSRC2:SCRATCH_EN: 0
; COMPUTE_PGM_RSRC2:USER_SGPR: 2
; COMPUTE_PGM_RSRC2:TRAP_HANDLER: 0
; COMPUTE_PGM_RSRC2:TGID_X_EN: 1
; COMPUTE_PGM_RSRC2:TGID_Y_EN: 0
; COMPUTE_PGM_RSRC2:TGID_Z_EN: 1
; COMPUTE_PGM_RSRC2:TIDIG_COMP_CNT: 0
	.section	.text._ZL23rocblas_syr_kernel_inc1ILb0ELi1024EffPKPKfPKPfEvimT2_lT3_llT4_llli,"axG",@progbits,_ZL23rocblas_syr_kernel_inc1ILb0ELi1024EffPKPKfPKPfEvimT2_lT3_llT4_llli,comdat
	.globl	_ZL23rocblas_syr_kernel_inc1ILb0ELi1024EffPKPKfPKPfEvimT2_lT3_llT4_llli ; -- Begin function _ZL23rocblas_syr_kernel_inc1ILb0ELi1024EffPKPKfPKPfEvimT2_lT3_llT4_llli
	.p2align	8
	.type	_ZL23rocblas_syr_kernel_inc1ILb0ELi1024EffPKPKfPKPfEvimT2_lT3_llT4_llli,@function
_ZL23rocblas_syr_kernel_inc1ILb0ELi1024EffPKPKfPKPfEvimT2_lT3_llT4_llli: ; @_ZL23rocblas_syr_kernel_inc1ILb0ELi1024EffPKPKfPKPfEvimT2_lT3_llT4_llli
; %bb.0:
	s_load_b32 s15, s[0:1], 0x58
	s_bfe_u32 s2, ttmp6, 0x40014
	s_lshr_b32 s3, ttmp7, 16
	s_add_co_i32 s2, s2, 1
	s_bfe_u32 s4, ttmp6, 0x40008
	s_mul_i32 s2, s3, s2
	s_getreg_b32 s20, hwreg(HW_REG_IB_STS2, 6, 4)
	s_add_co_i32 s4, s4, s2
	s_cmp_eq_u32 s20, 0
	s_cselect_b32 s18, s3, s4
	s_wait_kmcnt 0x0
	s_cmp_ge_u32 s18, s15
	s_cbranch_scc1 .LBB38_7
; %bb.1:
	s_clause 0x4
	s_load_b32 s2, s[0:1], 0x0
	s_load_b96 s[12:14], s[0:1], 0x8
	s_load_b128 s[4:7], s[0:1], 0x38
	s_load_b128 s[8:11], s[0:1], 0x20
	s_load_b64 s[16:17], s[0:1], 0x48
	v_mov_b32_e32 v1, 0
	s_wait_xcnt 0x0
	s_add_nc_u64 s[0:1], s[0:1], 0x60
	s_wait_kmcnt 0x0
	s_ashr_i32 s3, s2, 31
	s_cmp_neq_f32 s14, 0
	s_cselect_b32 s19, -1, 0
	s_bfe_u32 s21, ttmp6, 0x4000c
	s_and_b32 s22, ttmp6, 15
	s_add_co_i32 s21, s21, 1
	s_delay_alu instid0(SALU_CYCLE_1) | instskip(NEXT) | instid1(SALU_CYCLE_1)
	s_mul_i32 s21, ttmp9, s21
	s_add_co_i32 s22, s22, s21
	s_cmp_eq_u32 s20, 0
	s_cselect_b32 s20, ttmp9, s22
	s_add_co_i32 s21, s2, -1
	s_lshl_b64 s[6:7], s[6:7], 2
	s_lshl_b64 s[10:11], s[10:11], 2
	s_branch .LBB38_4
.LBB38_2:                               ;   in Loop: Header=BB38_4 Depth=1
	s_wait_xcnt 0x0
	s_or_b32 exec_lo, exec_lo, s22
.LBB38_3:                               ;   in Loop: Header=BB38_4 Depth=1
	s_add_co_i32 s18, s18, 0x10000
	s_delay_alu instid0(SALU_CYCLE_1)
	s_cmp_lt_u32 s18, s15
	s_cbranch_scc0 .LBB38_7
.LBB38_4:                               ; =>This Inner Loop Header: Depth=1
	s_and_not1_b32 vcc_lo, exec_lo, s19
	s_cbranch_vccnz .LBB38_3
; %bb.5:                                ;   in Loop: Header=BB38_4 Depth=1
	s_load_b32 s22, s[0:1], 0xc
	s_wait_kmcnt 0x0
	s_and_b32 s22, s22, 0xffff
	s_delay_alu instid0(SALU_CYCLE_1) | instskip(SKIP_1) | instid1(VALU_DEP_1)
	v_mad_nc_u64_u32 v[2:3], s22, s20, v[0:1]
	s_mov_b32 s22, exec_lo
	v_cmpx_gt_u64_e64 s[12:13], v[2:3]
	s_cbranch_execz .LBB38_2
; %bb.6:                                ;   in Loop: Header=BB38_4 Depth=1
	v_not_b32_e32 v3, v3
	v_not_b32_e32 v2, v2
	s_load_b64 s[24:25], s[4:5], s18 offset:0x0 scale_offset
	s_load_b64 s[26:27], s[8:9], s18 offset:0x0 scale_offset
	s_delay_alu instid0(VALU_DEP_1) | instskip(NEXT) | instid1(VALU_DEP_1)
	v_add_nc_u64_e32 v[2:3], s[12:13], v[2:3]
	v_lshlrev_b64_e32 v[4:5], 3, v[2:3]
	v_sub_nc_u32_e32 v2, s21, v2
	s_delay_alu instid0(VALU_DEP_2) | instskip(NEXT) | instid1(VALU_DEP_3)
	v_cvt_f64_u32_e32 v[6:7], v5
	v_or_b32_e32 v3, 1, v4
	s_wait_kmcnt 0x0
	s_add_nc_u64 s[24:25], s[24:25], s[6:7]
	s_delay_alu instid0(VALU_DEP_1) | instskip(NEXT) | instid1(VALU_DEP_3)
	v_cvt_f64_u32_e32 v[4:5], v3
	v_ldexp_f64 v[6:7], v[6:7], 32
	s_delay_alu instid0(VALU_DEP_1) | instskip(NEXT) | instid1(VALU_DEP_1)
	v_add_f64_e32 v[4:5], v[6:7], v[4:5]
	v_cmp_gt_f64_e32 vcc_lo, 0x10000000, v[4:5]
	v_cndmask_b32_e64 v3, 0, 0x100, vcc_lo
	s_delay_alu instid0(VALU_DEP_1) | instskip(SKIP_1) | instid1(VALU_DEP_2)
	v_ldexp_f64 v[4:5], v[4:5], v3
	v_cndmask_b32_e64 v3, 0, 0xffffff80, vcc_lo
	v_rsq_f64_e32 v[6:7], v[4:5]
	v_cmp_class_f64_e64 vcc_lo, v[4:5], 0x260
	s_delay_alu instid0(TRANS32_DEP_1) | instskip(SKIP_1) | instid1(VALU_DEP_1)
	v_mul_f64_e32 v[8:9], v[4:5], v[6:7]
	v_mul_f64_e32 v[6:7], 0.5, v[6:7]
	v_fma_f64 v[10:11], -v[6:7], v[8:9], 0.5
	s_delay_alu instid0(VALU_DEP_1) | instskip(SKIP_1) | instid1(VALU_DEP_2)
	v_fmac_f64_e32 v[8:9], v[8:9], v[10:11]
	v_fmac_f64_e32 v[6:7], v[6:7], v[10:11]
	v_fma_f64 v[10:11], -v[8:9], v[8:9], v[4:5]
	s_delay_alu instid0(VALU_DEP_1) | instskip(NEXT) | instid1(VALU_DEP_1)
	v_fmac_f64_e32 v[8:9], v[10:11], v[6:7]
	v_fma_f64 v[10:11], -v[8:9], v[8:9], v[4:5]
	s_delay_alu instid0(VALU_DEP_1) | instskip(NEXT) | instid1(VALU_DEP_1)
	v_fmac_f64_e32 v[8:9], v[10:11], v[6:7]
	v_ldexp_f64 v[6:7], v[8:9], v3
	s_delay_alu instid0(VALU_DEP_1) | instskip(NEXT) | instid1(VALU_DEP_1)
	v_dual_cndmask_b32 v5, v7, v5 :: v_dual_cndmask_b32 v4, v6, v4
	v_add_f64_e32 v[4:5], -1.0, v[4:5]
	s_delay_alu instid0(VALU_DEP_1) | instskip(NEXT) | instid1(VALU_DEP_1)
	v_mul_f64_e32 v[4:5], 0.5, v[4:5]
	v_cvt_i32_f64_e32 v4, v[4:5]
	s_delay_alu instid0(VALU_DEP_1) | instskip(NEXT) | instid1(VALU_DEP_1)
	v_mad_u32 v3, v4, v4, v4
	v_dual_sub_nc_u32 v6, s21, v4 :: v_dual_lshrrev_b32 v5, 31, v3
	s_delay_alu instid0(VALU_DEP_1) | instskip(NEXT) | instid1(VALU_DEP_1)
	v_dual_add_nc_u32 v3, v3, v5 :: v_dual_ashrrev_i32 v5, 31, v4
	v_dual_ashrrev_i32 v7, 31, v6 :: v_dual_ashrrev_i32 v3, 1, v3
	s_delay_alu instid0(VALU_DEP_2) | instskip(NEXT) | instid1(VALU_DEP_2)
	v_sub_nc_u64_e32 v[4:5], s[2:3], v[4:5]
	v_mul_u64_e32 v[6:7], s[16:17], v[6:7]
	s_delay_alu instid0(VALU_DEP_3) | instskip(NEXT) | instid1(VALU_DEP_1)
	v_add_nc_u32_e32 v2, v2, v3
	v_ashrrev_i32_e32 v3, 31, v2
	s_delay_alu instid0(VALU_DEP_3) | instskip(SKIP_1) | instid1(SALU_CYCLE_1)
	v_lshl_add_u64 v[6:7], v[6:7], 2, s[24:25]
	s_add_nc_u64 s[24:25], s[26:27], s[10:11]
	v_lshl_add_u64 v[4:5], v[4:5], 2, s[24:25]
	s_delay_alu instid0(VALU_DEP_2)
	v_lshl_add_u64 v[6:7], v[2:3], 2, v[6:7]
	s_clause 0x1
	flat_load_b32 v3, v2, s[24:25] scale_offset
	flat_load_b32 v8, v[4:5] offset:-4
	flat_load_b32 v9, v[6:7]
	s_wait_loadcnt_dscnt 0x202
	s_wait_xcnt 0x2
	v_mul_f32_e32 v2, s14, v3
	s_wait_loadcnt_dscnt 0x0
	s_delay_alu instid0(VALU_DEP_1)
	v_fmac_f32_e32 v9, v2, v8
	flat_store_b32 v[6:7], v9
	s_branch .LBB38_2
.LBB38_7:
	s_endpgm
	.section	.rodata,"a",@progbits
	.p2align	6, 0x0
	.amdhsa_kernel _ZL23rocblas_syr_kernel_inc1ILb0ELi1024EffPKPKfPKPfEvimT2_lT3_llT4_llli
		.amdhsa_group_segment_fixed_size 0
		.amdhsa_private_segment_fixed_size 0
		.amdhsa_kernarg_size 352
		.amdhsa_user_sgpr_count 2
		.amdhsa_user_sgpr_dispatch_ptr 0
		.amdhsa_user_sgpr_queue_ptr 0
		.amdhsa_user_sgpr_kernarg_segment_ptr 1
		.amdhsa_user_sgpr_dispatch_id 0
		.amdhsa_user_sgpr_kernarg_preload_length 0
		.amdhsa_user_sgpr_kernarg_preload_offset 0
		.amdhsa_user_sgpr_private_segment_size 0
		.amdhsa_wavefront_size32 1
		.amdhsa_uses_dynamic_stack 0
		.amdhsa_enable_private_segment 0
		.amdhsa_system_sgpr_workgroup_id_x 1
		.amdhsa_system_sgpr_workgroup_id_y 0
		.amdhsa_system_sgpr_workgroup_id_z 1
		.amdhsa_system_sgpr_workgroup_info 0
		.amdhsa_system_vgpr_workitem_id 0
		.amdhsa_next_free_vgpr 12
		.amdhsa_next_free_sgpr 28
		.amdhsa_named_barrier_count 0
		.amdhsa_reserve_vcc 1
		.amdhsa_float_round_mode_32 0
		.amdhsa_float_round_mode_16_64 0
		.amdhsa_float_denorm_mode_32 3
		.amdhsa_float_denorm_mode_16_64 3
		.amdhsa_fp16_overflow 0
		.amdhsa_memory_ordered 1
		.amdhsa_forward_progress 1
		.amdhsa_inst_pref_size 6
		.amdhsa_round_robin_scheduling 0
		.amdhsa_exception_fp_ieee_invalid_op 0
		.amdhsa_exception_fp_denorm_src 0
		.amdhsa_exception_fp_ieee_div_zero 0
		.amdhsa_exception_fp_ieee_overflow 0
		.amdhsa_exception_fp_ieee_underflow 0
		.amdhsa_exception_fp_ieee_inexact 0
		.amdhsa_exception_int_div_zero 0
	.end_amdhsa_kernel
	.section	.text._ZL23rocblas_syr_kernel_inc1ILb0ELi1024EffPKPKfPKPfEvimT2_lT3_llT4_llli,"axG",@progbits,_ZL23rocblas_syr_kernel_inc1ILb0ELi1024EffPKPKfPKPfEvimT2_lT3_llT4_llli,comdat
.Lfunc_end38:
	.size	_ZL23rocblas_syr_kernel_inc1ILb0ELi1024EffPKPKfPKPfEvimT2_lT3_llT4_llli, .Lfunc_end38-_ZL23rocblas_syr_kernel_inc1ILb0ELi1024EffPKPKfPKPfEvimT2_lT3_llT4_llli
                                        ; -- End function
	.set _ZL23rocblas_syr_kernel_inc1ILb0ELi1024EffPKPKfPKPfEvimT2_lT3_llT4_llli.num_vgpr, 12
	.set _ZL23rocblas_syr_kernel_inc1ILb0ELi1024EffPKPKfPKPfEvimT2_lT3_llT4_llli.num_agpr, 0
	.set _ZL23rocblas_syr_kernel_inc1ILb0ELi1024EffPKPKfPKPfEvimT2_lT3_llT4_llli.numbered_sgpr, 28
	.set _ZL23rocblas_syr_kernel_inc1ILb0ELi1024EffPKPKfPKPfEvimT2_lT3_llT4_llli.num_named_barrier, 0
	.set _ZL23rocblas_syr_kernel_inc1ILb0ELi1024EffPKPKfPKPfEvimT2_lT3_llT4_llli.private_seg_size, 0
	.set _ZL23rocblas_syr_kernel_inc1ILb0ELi1024EffPKPKfPKPfEvimT2_lT3_llT4_llli.uses_vcc, 1
	.set _ZL23rocblas_syr_kernel_inc1ILb0ELi1024EffPKPKfPKPfEvimT2_lT3_llT4_llli.uses_flat_scratch, 1
	.set _ZL23rocblas_syr_kernel_inc1ILb0ELi1024EffPKPKfPKPfEvimT2_lT3_llT4_llli.has_dyn_sized_stack, 0
	.set _ZL23rocblas_syr_kernel_inc1ILb0ELi1024EffPKPKfPKPfEvimT2_lT3_llT4_llli.has_recursion, 0
	.set _ZL23rocblas_syr_kernel_inc1ILb0ELi1024EffPKPKfPKPfEvimT2_lT3_llT4_llli.has_indirect_call, 0
	.section	.AMDGPU.csdata,"",@progbits
; Kernel info:
; codeLenInByte = 716
; TotalNumSgprs: 30
; NumVgprs: 12
; ScratchSize: 0
; MemoryBound: 0
; FloatMode: 240
; IeeeMode: 1
; LDSByteSize: 0 bytes/workgroup (compile time only)
; SGPRBlocks: 0
; VGPRBlocks: 0
; NumSGPRsForWavesPerEU: 30
; NumVGPRsForWavesPerEU: 12
; NamedBarCnt: 0
; Occupancy: 16
; WaveLimiterHint : 1
; COMPUTE_PGM_RSRC2:SCRATCH_EN: 0
; COMPUTE_PGM_RSRC2:USER_SGPR: 2
; COMPUTE_PGM_RSRC2:TRAP_HANDLER: 0
; COMPUTE_PGM_RSRC2:TGID_X_EN: 1
; COMPUTE_PGM_RSRC2:TGID_Y_EN: 0
; COMPUTE_PGM_RSRC2:TGID_Z_EN: 1
; COMPUTE_PGM_RSRC2:TIDIG_COMP_CNT: 0
	.section	.text._ZL18rocblas_syr_kernelILb0ELi1024EffPKPKfPKPfEvimT2_lT3_lllT4_llli,"axG",@progbits,_ZL18rocblas_syr_kernelILb0ELi1024EffPKPKfPKPfEvimT2_lT3_lllT4_llli,comdat
	.globl	_ZL18rocblas_syr_kernelILb0ELi1024EffPKPKfPKPfEvimT2_lT3_lllT4_llli ; -- Begin function _ZL18rocblas_syr_kernelILb0ELi1024EffPKPKfPKPfEvimT2_lT3_lllT4_llli
	.p2align	8
	.type	_ZL18rocblas_syr_kernelILb0ELi1024EffPKPKfPKPfEvimT2_lT3_lllT4_llli,@function
_ZL18rocblas_syr_kernelILb0ELi1024EffPKPKfPKPfEvimT2_lT3_lllT4_llli: ; @_ZL18rocblas_syr_kernelILb0ELi1024EffPKPKfPKPfEvimT2_lT3_lllT4_llli
; %bb.0:
	s_load_b32 s15, s[0:1], 0x60
	s_bfe_u32 s2, ttmp6, 0x40014
	s_lshr_b32 s3, ttmp7, 16
	s_add_co_i32 s2, s2, 1
	s_bfe_u32 s4, ttmp6, 0x40008
	s_mul_i32 s2, s3, s2
	s_getreg_b32 s20, hwreg(HW_REG_IB_STS2, 6, 4)
	s_add_co_i32 s4, s4, s2
	s_cmp_eq_u32 s20, 0
	s_cselect_b32 s18, s3, s4
	s_wait_kmcnt 0x0
	s_cmp_ge_u32 s18, s15
	s_cbranch_scc1 .LBB39_7
; %bb.1:
	s_clause 0x5
	s_load_b96 s[12:14], s[0:1], 0x8
	s_load_b32 s21, s[0:1], 0x0
	s_load_b128 s[4:7], s[0:1], 0x40
	s_load_b128 s[8:11], s[0:1], 0x20
	s_load_b64 s[2:3], s[0:1], 0x50
	s_load_b64 s[16:17], s[0:1], 0x30
	v_mov_b32_e32 v1, 0
	s_wait_xcnt 0x0
	s_add_nc_u64 s[0:1], s[0:1], 0x68
	s_wait_kmcnt 0x0
	s_cmp_neq_f32 s14, 0
	s_cselect_b32 s19, -1, 0
	s_bfe_u32 s22, ttmp6, 0x4000c
	s_and_b32 s23, ttmp6, 15
	s_add_co_i32 s22, s22, 1
	s_delay_alu instid0(SALU_CYCLE_1) | instskip(NEXT) | instid1(SALU_CYCLE_1)
	s_mul_i32 s22, ttmp9, s22
	s_add_co_i32 s23, s23, s22
	s_cmp_eq_u32 s20, 0
	s_cselect_b32 s20, ttmp9, s23
	s_add_co_i32 s21, s21, -1
	s_lshl_b64 s[6:7], s[6:7], 2
	s_lshl_b64 s[10:11], s[10:11], 2
	s_branch .LBB39_4
.LBB39_2:                               ;   in Loop: Header=BB39_4 Depth=1
	s_wait_xcnt 0x0
	s_or_b32 exec_lo, exec_lo, s22
.LBB39_3:                               ;   in Loop: Header=BB39_4 Depth=1
	s_add_co_i32 s18, s18, 0x10000
	s_delay_alu instid0(SALU_CYCLE_1)
	s_cmp_lt_u32 s18, s15
	s_cbranch_scc0 .LBB39_7
.LBB39_4:                               ; =>This Inner Loop Header: Depth=1
	s_and_not1_b32 vcc_lo, exec_lo, s19
	s_cbranch_vccnz .LBB39_3
; %bb.5:                                ;   in Loop: Header=BB39_4 Depth=1
	s_load_b32 s22, s[0:1], 0xc
	s_wait_kmcnt 0x0
	s_and_b32 s22, s22, 0xffff
	s_delay_alu instid0(SALU_CYCLE_1) | instskip(SKIP_1) | instid1(VALU_DEP_1)
	v_mad_nc_u64_u32 v[2:3], s22, s20, v[0:1]
	s_mov_b32 s22, exec_lo
	v_cmpx_gt_u64_e64 s[12:13], v[2:3]
	s_cbranch_execz .LBB39_2
; %bb.6:                                ;   in Loop: Header=BB39_4 Depth=1
	v_not_b32_e32 v3, v3
	v_not_b32_e32 v2, v2
	s_load_b64 s[24:25], s[4:5], s18 offset:0x0 scale_offset
	s_load_b64 s[26:27], s[8:9], s18 offset:0x0 scale_offset
	s_delay_alu instid0(VALU_DEP_1) | instskip(NEXT) | instid1(VALU_DEP_1)
	v_add_nc_u64_e32 v[2:3], s[12:13], v[2:3]
	v_lshlrev_b64_e32 v[4:5], 3, v[2:3]
	s_delay_alu instid0(VALU_DEP_1) | instskip(NEXT) | instid1(VALU_DEP_2)
	v_cvt_f64_u32_e32 v[6:7], v5
	v_or_b32_e32 v3, 1, v4
	s_wait_kmcnt 0x0
	s_add_nc_u64 s[24:25], s[24:25], s[6:7]
	s_add_nc_u64 s[26:27], s[26:27], s[10:11]
	s_delay_alu instid0(VALU_DEP_1) | instskip(NEXT) | instid1(VALU_DEP_3)
	v_cvt_f64_u32_e32 v[4:5], v3
	v_ldexp_f64 v[6:7], v[6:7], 32
	s_delay_alu instid0(VALU_DEP_1) | instskip(NEXT) | instid1(VALU_DEP_1)
	v_add_f64_e32 v[4:5], v[6:7], v[4:5]
	v_cmp_gt_f64_e32 vcc_lo, 0x10000000, v[4:5]
	v_cndmask_b32_e64 v3, 0, 0x100, vcc_lo
	s_delay_alu instid0(VALU_DEP_1) | instskip(SKIP_1) | instid1(VALU_DEP_2)
	v_ldexp_f64 v[4:5], v[4:5], v3
	v_cndmask_b32_e64 v3, 0, 0xffffff80, vcc_lo
	v_rsq_f64_e32 v[6:7], v[4:5]
	v_cmp_class_f64_e64 vcc_lo, v[4:5], 0x260
	s_delay_alu instid0(TRANS32_DEP_1) | instskip(SKIP_1) | instid1(VALU_DEP_1)
	v_mul_f64_e32 v[8:9], v[4:5], v[6:7]
	v_mul_f64_e32 v[6:7], 0.5, v[6:7]
	v_fma_f64 v[10:11], -v[6:7], v[8:9], 0.5
	s_delay_alu instid0(VALU_DEP_1) | instskip(SKIP_1) | instid1(VALU_DEP_2)
	v_fmac_f64_e32 v[8:9], v[8:9], v[10:11]
	v_fmac_f64_e32 v[6:7], v[6:7], v[10:11]
	v_fma_f64 v[10:11], -v[8:9], v[8:9], v[4:5]
	s_delay_alu instid0(VALU_DEP_1) | instskip(NEXT) | instid1(VALU_DEP_1)
	v_fmac_f64_e32 v[8:9], v[10:11], v[6:7]
	v_fma_f64 v[10:11], -v[8:9], v[8:9], v[4:5]
	s_delay_alu instid0(VALU_DEP_1) | instskip(NEXT) | instid1(VALU_DEP_1)
	v_fmac_f64_e32 v[8:9], v[10:11], v[6:7]
	v_ldexp_f64 v[6:7], v[8:9], v3
	s_delay_alu instid0(VALU_DEP_1) | instskip(NEXT) | instid1(VALU_DEP_1)
	v_dual_cndmask_b32 v5, v7, v5 :: v_dual_cndmask_b32 v4, v6, v4
	v_add_f64_e32 v[4:5], -1.0, v[4:5]
	s_delay_alu instid0(VALU_DEP_1) | instskip(NEXT) | instid1(VALU_DEP_1)
	v_mul_f64_e32 v[4:5], 0.5, v[4:5]
	v_cvt_i32_f64_e32 v3, v[4:5]
	s_delay_alu instid0(VALU_DEP_1) | instskip(NEXT) | instid1(VALU_DEP_1)
	v_mad_u32 v4, v3, v3, v3
	v_lshrrev_b32_e32 v5, 31, v4
	s_delay_alu instid0(VALU_DEP_1) | instskip(NEXT) | instid1(VALU_DEP_1)
	v_dual_add_nc_u32 v4, v4, v5 :: v_dual_sub_nc_u32 v5, s21, v2
	v_dual_sub_nc_u32 v2, s21, v3 :: v_dual_ashrrev_i32 v4, 1, v4
	s_delay_alu instid0(VALU_DEP_1) | instskip(NEXT) | instid1(VALU_DEP_1)
	v_dual_ashrrev_i32 v3, 31, v2 :: v_dual_add_nc_u32 v4, v5, v4
	v_mul_u64_e32 v[6:7], s[2:3], v[2:3]
	v_mul_u64_e32 v[2:3], s[16:17], v[2:3]
	s_delay_alu instid0(VALU_DEP_3) | instskip(NEXT) | instid1(VALU_DEP_1)
	v_ashrrev_i32_e32 v5, 31, v4
	v_mul_u64_e32 v[8:9], s[16:17], v[4:5]
	s_delay_alu instid0(VALU_DEP_4) | instskip(NEXT) | instid1(VALU_DEP_4)
	v_lshl_add_u64 v[6:7], v[6:7], 2, s[24:25]
	v_lshl_add_u64 v[2:3], v[2:3], 2, s[26:27]
	s_delay_alu instid0(VALU_DEP_2) | instskip(NEXT) | instid1(VALU_DEP_4)
	v_lshl_add_u64 v[4:5], v[4:5], 2, v[6:7]
	v_lshl_add_u64 v[8:9], v[8:9], 2, s[26:27]
	s_clause 0x1
	flat_load_b32 v6, v[8:9]
	flat_load_b32 v7, v[2:3]
	;; [unrolled: 1-line block ×3, first 2 shown]
	s_wait_loadcnt_dscnt 0x202
	s_wait_xcnt 0x1
	v_mul_f32_e32 v2, s14, v6
	s_wait_loadcnt_dscnt 0x0
	s_delay_alu instid0(VALU_DEP_1)
	v_fmac_f32_e32 v10, v2, v7
	flat_store_b32 v[4:5], v10
	s_branch .LBB39_2
.LBB39_7:
	s_endpgm
	.section	.rodata,"a",@progbits
	.p2align	6, 0x0
	.amdhsa_kernel _ZL18rocblas_syr_kernelILb0ELi1024EffPKPKfPKPfEvimT2_lT3_lllT4_llli
		.amdhsa_group_segment_fixed_size 0
		.amdhsa_private_segment_fixed_size 0
		.amdhsa_kernarg_size 360
		.amdhsa_user_sgpr_count 2
		.amdhsa_user_sgpr_dispatch_ptr 0
		.amdhsa_user_sgpr_queue_ptr 0
		.amdhsa_user_sgpr_kernarg_segment_ptr 1
		.amdhsa_user_sgpr_dispatch_id 0
		.amdhsa_user_sgpr_kernarg_preload_length 0
		.amdhsa_user_sgpr_kernarg_preload_offset 0
		.amdhsa_user_sgpr_private_segment_size 0
		.amdhsa_wavefront_size32 1
		.amdhsa_uses_dynamic_stack 0
		.amdhsa_enable_private_segment 0
		.amdhsa_system_sgpr_workgroup_id_x 1
		.amdhsa_system_sgpr_workgroup_id_y 0
		.amdhsa_system_sgpr_workgroup_id_z 1
		.amdhsa_system_sgpr_workgroup_info 0
		.amdhsa_system_vgpr_workitem_id 0
		.amdhsa_next_free_vgpr 12
		.amdhsa_next_free_sgpr 28
		.amdhsa_named_barrier_count 0
		.amdhsa_reserve_vcc 1
		.amdhsa_float_round_mode_32 0
		.amdhsa_float_round_mode_16_64 0
		.amdhsa_float_denorm_mode_32 3
		.amdhsa_float_denorm_mode_16_64 3
		.amdhsa_fp16_overflow 0
		.amdhsa_memory_ordered 1
		.amdhsa_forward_progress 1
		.amdhsa_inst_pref_size 6
		.amdhsa_round_robin_scheduling 0
		.amdhsa_exception_fp_ieee_invalid_op 0
		.amdhsa_exception_fp_denorm_src 0
		.amdhsa_exception_fp_ieee_div_zero 0
		.amdhsa_exception_fp_ieee_overflow 0
		.amdhsa_exception_fp_ieee_underflow 0
		.amdhsa_exception_fp_ieee_inexact 0
		.amdhsa_exception_int_div_zero 0
	.end_amdhsa_kernel
	.section	.text._ZL18rocblas_syr_kernelILb0ELi1024EffPKPKfPKPfEvimT2_lT3_lllT4_llli,"axG",@progbits,_ZL18rocblas_syr_kernelILb0ELi1024EffPKPKfPKPfEvimT2_lT3_lllT4_llli,comdat
.Lfunc_end39:
	.size	_ZL18rocblas_syr_kernelILb0ELi1024EffPKPKfPKPfEvimT2_lT3_lllT4_llli, .Lfunc_end39-_ZL18rocblas_syr_kernelILb0ELi1024EffPKPKfPKPfEvimT2_lT3_lllT4_llli
                                        ; -- End function
	.set _ZL18rocblas_syr_kernelILb0ELi1024EffPKPKfPKPfEvimT2_lT3_lllT4_llli.num_vgpr, 12
	.set _ZL18rocblas_syr_kernelILb0ELi1024EffPKPKfPKPfEvimT2_lT3_lllT4_llli.num_agpr, 0
	.set _ZL18rocblas_syr_kernelILb0ELi1024EffPKPKfPKPfEvimT2_lT3_lllT4_llli.numbered_sgpr, 28
	.set _ZL18rocblas_syr_kernelILb0ELi1024EffPKPKfPKPfEvimT2_lT3_lllT4_llli.num_named_barrier, 0
	.set _ZL18rocblas_syr_kernelILb0ELi1024EffPKPKfPKPfEvimT2_lT3_lllT4_llli.private_seg_size, 0
	.set _ZL18rocblas_syr_kernelILb0ELi1024EffPKPKfPKPfEvimT2_lT3_lllT4_llli.uses_vcc, 1
	.set _ZL18rocblas_syr_kernelILb0ELi1024EffPKPKfPKPfEvimT2_lT3_lllT4_llli.uses_flat_scratch, 1
	.set _ZL18rocblas_syr_kernelILb0ELi1024EffPKPKfPKPfEvimT2_lT3_lllT4_llli.has_dyn_sized_stack, 0
	.set _ZL18rocblas_syr_kernelILb0ELi1024EffPKPKfPKPfEvimT2_lT3_lllT4_llli.has_recursion, 0
	.set _ZL18rocblas_syr_kernelILb0ELi1024EffPKPKfPKPfEvimT2_lT3_lllT4_llli.has_indirect_call, 0
	.section	.AMDGPU.csdata,"",@progbits
; Kernel info:
; codeLenInByte = 728
; TotalNumSgprs: 30
; NumVgprs: 12
; ScratchSize: 0
; MemoryBound: 0
; FloatMode: 240
; IeeeMode: 1
; LDSByteSize: 0 bytes/workgroup (compile time only)
; SGPRBlocks: 0
; VGPRBlocks: 0
; NumSGPRsForWavesPerEU: 30
; NumVGPRsForWavesPerEU: 12
; NamedBarCnt: 0
; Occupancy: 16
; WaveLimiterHint : 1
; COMPUTE_PGM_RSRC2:SCRATCH_EN: 0
; COMPUTE_PGM_RSRC2:USER_SGPR: 2
; COMPUTE_PGM_RSRC2:TRAP_HANDLER: 0
; COMPUTE_PGM_RSRC2:TGID_X_EN: 1
; COMPUTE_PGM_RSRC2:TGID_Y_EN: 0
; COMPUTE_PGM_RSRC2:TGID_Z_EN: 1
; COMPUTE_PGM_RSRC2:TIDIG_COMP_CNT: 0
	.section	.text._ZL23rocblas_syr_kernel_inc1ILb1ELi1024EdPKdPKS1_PKPdEvimT2_lT3_llT4_llli,"axG",@progbits,_ZL23rocblas_syr_kernel_inc1ILb1ELi1024EdPKdPKS1_PKPdEvimT2_lT3_llT4_llli,comdat
	.globl	_ZL23rocblas_syr_kernel_inc1ILb1ELi1024EdPKdPKS1_PKPdEvimT2_lT3_llT4_llli ; -- Begin function _ZL23rocblas_syr_kernel_inc1ILb1ELi1024EdPKdPKS1_PKPdEvimT2_lT3_llT4_llli
	.p2align	8
	.type	_ZL23rocblas_syr_kernel_inc1ILb1ELi1024EdPKdPKS1_PKPdEvimT2_lT3_llT4_llli,@function
_ZL23rocblas_syr_kernel_inc1ILb1ELi1024EdPKdPKS1_PKPdEvimT2_lT3_llT4_llli: ; @_ZL23rocblas_syr_kernel_inc1ILb1ELi1024EdPKdPKS1_PKPdEvimT2_lT3_llT4_llli
; %bb.0:
	s_load_b32 s20, s[0:1], 0x58
	s_bfe_u32 s2, ttmp6, 0x40014
	s_lshr_b32 s3, ttmp7, 16
	s_add_co_i32 s2, s2, 1
	s_bfe_u32 s4, ttmp6, 0x40008
	s_mul_i32 s2, s3, s2
	s_getreg_b32 s18, hwreg(HW_REG_IB_STS2, 6, 4)
	s_add_co_i32 s4, s4, s2
	s_cmp_eq_u32 s18, 0
	s_cselect_b32 s2, s3, s4
	s_mov_b32 s3, 0
	s_wait_kmcnt 0x0
	s_cmp_ge_u32 s2, s20
	s_cbranch_scc1 .LBB40_7
; %bb.1:
	s_clause 0x3
	s_load_b128 s[12:15], s[0:1], 0x38
	s_load_b64 s[22:23], s[0:1], 0x28
	s_load_b256 s[4:11], s[0:1], 0x8
	s_load_b64 s[16:17], s[0:1], 0x48
	s_bfe_u32 s19, ttmp6, 0x4000c
	s_and_b32 s21, ttmp6, 15
	s_add_co_i32 s19, s19, 1
	v_mov_b32_e32 v1, 0
	s_mul_i32 s19, ttmp9, s19
	s_wait_xcnt 0x0
	s_add_nc_u64 s[0:1], s[0:1], 0x60
	s_add_co_i32 s21, s21, s19
	s_cmp_eq_u32 s18, 0
	s_cselect_b32 s21, ttmp9, s21
	s_wait_kmcnt 0x0
	s_lshl_b64 s[14:15], s[14:15], 3
	s_lshl_b64 s[18:19], s[22:23], 3
	s_branch .LBB40_4
.LBB40_2:                               ;   in Loop: Header=BB40_4 Depth=1
	s_wait_xcnt 0x0
	s_or_b32 exec_lo, exec_lo, s22
.LBB40_3:                               ;   in Loop: Header=BB40_4 Depth=1
	s_add_co_i32 s2, s2, 0x10000
	s_delay_alu instid0(SALU_CYCLE_1)
	s_cmp_lt_u32 s2, s20
	s_cbranch_scc0 .LBB40_7
.LBB40_4:                               ; =>This Inner Loop Header: Depth=1
	s_wait_xcnt 0x0
	s_mul_u64 s[22:23], s[8:9], s[2:3]
	s_delay_alu instid0(SALU_CYCLE_1) | instskip(NEXT) | instid1(SALU_CYCLE_1)
	s_lshl_b64 s[22:23], s[22:23], 3
	s_add_nc_u64 s[22:23], s[6:7], s[22:23]
	global_load_b64 v[2:3], v1, s[22:23]
	s_wait_loadcnt 0x0
	v_cmp_eq_f64_e32 vcc_lo, 0, v[2:3]
	s_cbranch_vccnz .LBB40_3
; %bb.5:                                ;   in Loop: Header=BB40_4 Depth=1
	s_wait_xcnt 0x0
	s_load_b32 s22, s[0:1], 0xc
	s_wait_kmcnt 0x0
	s_and_b32 s22, s22, 0xffff
	s_delay_alu instid0(SALU_CYCLE_1) | instskip(SKIP_1) | instid1(VALU_DEP_1)
	v_mad_nc_u64_u32 v[4:5], s22, s21, v[0:1]
	s_mov_b32 s22, exec_lo
	v_cmpx_gt_u64_e64 s[4:5], v[4:5]
	s_cbranch_execz .LBB40_2
; %bb.6:                                ;   in Loop: Header=BB40_4 Depth=1
	v_lshlrev_b64_e32 v[6:7], 3, v[4:5]
	s_lshl_b64 s[24:25], s[2:3], 3
	s_delay_alu instid0(SALU_CYCLE_1) | instskip(SKIP_2) | instid1(VALU_DEP_1)
	s_add_nc_u64 s[26:27], s[10:11], s[24:25]
	s_add_nc_u64 s[24:25], s[12:13], s[24:25]
	s_load_b64 s[26:27], s[26:27], 0x0
	v_cvt_f64_u32_e32 v[8:9], v7
	s_delay_alu instid0(VALU_DEP_2) | instskip(SKIP_1) | instid1(VALU_DEP_1)
	v_or_b32_e32 v5, 1, v6
	s_load_b64 s[24:25], s[24:25], 0x0
	v_cvt_f64_u32_e32 v[6:7], v5
	s_wait_kmcnt 0x0
	s_wait_xcnt 0x0
	s_add_nc_u64 s[26:27], s[26:27], s[18:19]
	s_add_nc_u64 s[24:25], s[24:25], s[14:15]
	s_delay_alu instid0(VALU_DEP_3) | instskip(NEXT) | instid1(VALU_DEP_1)
	v_ldexp_f64 v[8:9], v[8:9], 32
	v_add_f64_e32 v[6:7], v[8:9], v[6:7]
	s_delay_alu instid0(VALU_DEP_1) | instskip(SKIP_1) | instid1(VALU_DEP_1)
	v_cmp_gt_f64_e32 vcc_lo, 0x10000000, v[6:7]
	v_cndmask_b32_e64 v5, 0, 0x100, vcc_lo
	v_ldexp_f64 v[6:7], v[6:7], v5
	v_cndmask_b32_e64 v5, 0, 0xffffff80, vcc_lo
	s_delay_alu instid0(VALU_DEP_2) | instskip(SKIP_1) | instid1(TRANS32_DEP_1)
	v_rsq_f64_e32 v[8:9], v[6:7]
	v_cmp_class_f64_e64 vcc_lo, v[6:7], 0x260
	v_mul_f64_e32 v[10:11], v[6:7], v[8:9]
	v_mul_f64_e32 v[8:9], 0.5, v[8:9]
	s_delay_alu instid0(VALU_DEP_1) | instskip(NEXT) | instid1(VALU_DEP_1)
	v_fma_f64 v[12:13], -v[8:9], v[10:11], 0.5
	v_fmac_f64_e32 v[10:11], v[10:11], v[12:13]
	v_fmac_f64_e32 v[8:9], v[8:9], v[12:13]
	s_delay_alu instid0(VALU_DEP_2) | instskip(NEXT) | instid1(VALU_DEP_1)
	v_fma_f64 v[12:13], -v[10:11], v[10:11], v[6:7]
	v_fmac_f64_e32 v[10:11], v[12:13], v[8:9]
	s_delay_alu instid0(VALU_DEP_1) | instskip(NEXT) | instid1(VALU_DEP_1)
	v_fma_f64 v[12:13], -v[10:11], v[10:11], v[6:7]
	v_fmac_f64_e32 v[10:11], v[12:13], v[8:9]
	s_delay_alu instid0(VALU_DEP_1) | instskip(NEXT) | instid1(VALU_DEP_1)
	v_ldexp_f64 v[8:9], v[10:11], v5
	v_dual_cndmask_b32 v7, v9, v7 :: v_dual_cndmask_b32 v6, v8, v6
	s_delay_alu instid0(VALU_DEP_1) | instskip(NEXT) | instid1(VALU_DEP_1)
	v_add_f64_e32 v[6:7], -1.0, v[6:7]
	v_mul_f64_e32 v[6:7], 0.5, v[6:7]
	s_delay_alu instid0(VALU_DEP_1) | instskip(NEXT) | instid1(VALU_DEP_1)
	v_cvt_i32_f64_e32 v6, v[6:7]
	v_mad_u32 v5, v6, v6, v6
	s_delay_alu instid0(VALU_DEP_1) | instskip(NEXT) | instid1(VALU_DEP_1)
	v_lshrrev_b32_e32 v7, 31, v5
	v_dual_add_nc_u32 v5, v5, v7 :: v_dual_ashrrev_i32 v7, 31, v6
	s_delay_alu instid0(VALU_DEP_1) | instskip(NEXT) | instid1(VALU_DEP_2)
	v_ashrrev_i32_e32 v5, 1, v5
	v_mul_u64_e32 v[8:9], s[16:17], v[6:7]
	s_delay_alu instid0(VALU_DEP_2) | instskip(SKIP_4) | instid1(VALU_DEP_1)
	v_sub_nc_u32_e32 v4, v4, v5
	flat_load_b64 v[10:11], v4, s[26:27] scale_offset
	v_ashrrev_i32_e32 v5, 31, v4
	v_lshl_add_u64 v[8:9], v[8:9], 3, s[24:25]
	s_wait_xcnt 0x0
	v_lshl_add_u64 v[4:5], v[4:5], 3, v[8:9]
	flat_load_b64 v[8:9], v6, s[26:27] scale_offset
	flat_load_b64 v[12:13], v[4:5]
	s_wait_loadcnt_dscnt 0x202
	v_mul_f64_e32 v[2:3], v[2:3], v[10:11]
	s_wait_loadcnt_dscnt 0x0
	s_delay_alu instid0(VALU_DEP_1)
	v_fmac_f64_e32 v[12:13], v[2:3], v[8:9]
	flat_store_b64 v[4:5], v[12:13]
	s_branch .LBB40_2
.LBB40_7:
	s_endpgm
	.section	.rodata,"a",@progbits
	.p2align	6, 0x0
	.amdhsa_kernel _ZL23rocblas_syr_kernel_inc1ILb1ELi1024EdPKdPKS1_PKPdEvimT2_lT3_llT4_llli
		.amdhsa_group_segment_fixed_size 0
		.amdhsa_private_segment_fixed_size 0
		.amdhsa_kernarg_size 352
		.amdhsa_user_sgpr_count 2
		.amdhsa_user_sgpr_dispatch_ptr 0
		.amdhsa_user_sgpr_queue_ptr 0
		.amdhsa_user_sgpr_kernarg_segment_ptr 1
		.amdhsa_user_sgpr_dispatch_id 0
		.amdhsa_user_sgpr_kernarg_preload_length 0
		.amdhsa_user_sgpr_kernarg_preload_offset 0
		.amdhsa_user_sgpr_private_segment_size 0
		.amdhsa_wavefront_size32 1
		.amdhsa_uses_dynamic_stack 0
		.amdhsa_enable_private_segment 0
		.amdhsa_system_sgpr_workgroup_id_x 1
		.amdhsa_system_sgpr_workgroup_id_y 0
		.amdhsa_system_sgpr_workgroup_id_z 1
		.amdhsa_system_sgpr_workgroup_info 0
		.amdhsa_system_vgpr_workitem_id 0
		.amdhsa_next_free_vgpr 14
		.amdhsa_next_free_sgpr 28
		.amdhsa_named_barrier_count 0
		.amdhsa_reserve_vcc 1
		.amdhsa_float_round_mode_32 0
		.amdhsa_float_round_mode_16_64 0
		.amdhsa_float_denorm_mode_32 3
		.amdhsa_float_denorm_mode_16_64 3
		.amdhsa_fp16_overflow 0
		.amdhsa_memory_ordered 1
		.amdhsa_forward_progress 1
		.amdhsa_inst_pref_size 6
		.amdhsa_round_robin_scheduling 0
		.amdhsa_exception_fp_ieee_invalid_op 0
		.amdhsa_exception_fp_denorm_src 0
		.amdhsa_exception_fp_ieee_div_zero 0
		.amdhsa_exception_fp_ieee_overflow 0
		.amdhsa_exception_fp_ieee_underflow 0
		.amdhsa_exception_fp_ieee_inexact 0
		.amdhsa_exception_int_div_zero 0
	.end_amdhsa_kernel
	.section	.text._ZL23rocblas_syr_kernel_inc1ILb1ELi1024EdPKdPKS1_PKPdEvimT2_lT3_llT4_llli,"axG",@progbits,_ZL23rocblas_syr_kernel_inc1ILb1ELi1024EdPKdPKS1_PKPdEvimT2_lT3_llT4_llli,comdat
.Lfunc_end40:
	.size	_ZL23rocblas_syr_kernel_inc1ILb1ELi1024EdPKdPKS1_PKPdEvimT2_lT3_llT4_llli, .Lfunc_end40-_ZL23rocblas_syr_kernel_inc1ILb1ELi1024EdPKdPKS1_PKPdEvimT2_lT3_llT4_llli
                                        ; -- End function
	.set _ZL23rocblas_syr_kernel_inc1ILb1ELi1024EdPKdPKS1_PKPdEvimT2_lT3_llT4_llli.num_vgpr, 14
	.set _ZL23rocblas_syr_kernel_inc1ILb1ELi1024EdPKdPKS1_PKPdEvimT2_lT3_llT4_llli.num_agpr, 0
	.set _ZL23rocblas_syr_kernel_inc1ILb1ELi1024EdPKdPKS1_PKPdEvimT2_lT3_llT4_llli.numbered_sgpr, 28
	.set _ZL23rocblas_syr_kernel_inc1ILb1ELi1024EdPKdPKS1_PKPdEvimT2_lT3_llT4_llli.num_named_barrier, 0
	.set _ZL23rocblas_syr_kernel_inc1ILb1ELi1024EdPKdPKS1_PKPdEvimT2_lT3_llT4_llli.private_seg_size, 0
	.set _ZL23rocblas_syr_kernel_inc1ILb1ELi1024EdPKdPKS1_PKPdEvimT2_lT3_llT4_llli.uses_vcc, 1
	.set _ZL23rocblas_syr_kernel_inc1ILb1ELi1024EdPKdPKS1_PKPdEvimT2_lT3_llT4_llli.uses_flat_scratch, 0
	.set _ZL23rocblas_syr_kernel_inc1ILb1ELi1024EdPKdPKS1_PKPdEvimT2_lT3_llT4_llli.has_dyn_sized_stack, 0
	.set _ZL23rocblas_syr_kernel_inc1ILb1ELi1024EdPKdPKS1_PKPdEvimT2_lT3_llT4_llli.has_recursion, 0
	.set _ZL23rocblas_syr_kernel_inc1ILb1ELi1024EdPKdPKS1_PKPdEvimT2_lT3_llT4_llli.has_indirect_call, 0
	.section	.AMDGPU.csdata,"",@progbits
; Kernel info:
; codeLenInByte = 688
; TotalNumSgprs: 30
; NumVgprs: 14
; ScratchSize: 0
; MemoryBound: 0
; FloatMode: 240
; IeeeMode: 1
; LDSByteSize: 0 bytes/workgroup (compile time only)
; SGPRBlocks: 0
; VGPRBlocks: 0
; NumSGPRsForWavesPerEU: 30
; NumVGPRsForWavesPerEU: 14
; NamedBarCnt: 0
; Occupancy: 16
; WaveLimiterHint : 1
; COMPUTE_PGM_RSRC2:SCRATCH_EN: 0
; COMPUTE_PGM_RSRC2:USER_SGPR: 2
; COMPUTE_PGM_RSRC2:TRAP_HANDLER: 0
; COMPUTE_PGM_RSRC2:TGID_X_EN: 1
; COMPUTE_PGM_RSRC2:TGID_Y_EN: 0
; COMPUTE_PGM_RSRC2:TGID_Z_EN: 1
; COMPUTE_PGM_RSRC2:TIDIG_COMP_CNT: 0
	.section	.text._ZL18rocblas_syr_kernelILb1ELi1024EdPKdPKS1_PKPdEvimT2_lT3_lllT4_llli,"axG",@progbits,_ZL18rocblas_syr_kernelILb1ELi1024EdPKdPKS1_PKPdEvimT2_lT3_lllT4_llli,comdat
	.globl	_ZL18rocblas_syr_kernelILb1ELi1024EdPKdPKS1_PKPdEvimT2_lT3_lllT4_llli ; -- Begin function _ZL18rocblas_syr_kernelILb1ELi1024EdPKdPKS1_PKPdEvimT2_lT3_lllT4_llli
	.p2align	8
	.type	_ZL18rocblas_syr_kernelILb1ELi1024EdPKdPKS1_PKPdEvimT2_lT3_lllT4_llli,@function
_ZL18rocblas_syr_kernelILb1ELi1024EdPKdPKS1_PKPdEvimT2_lT3_lllT4_llli: ; @_ZL18rocblas_syr_kernelILb1ELi1024EdPKdPKS1_PKPdEvimT2_lT3_lllT4_llli
; %bb.0:
	s_load_b32 s22, s[0:1], 0x60
	s_bfe_u32 s2, ttmp6, 0x40014
	s_lshr_b32 s3, ttmp7, 16
	s_add_co_i32 s2, s2, 1
	s_bfe_u32 s4, ttmp6, 0x40008
	s_mul_i32 s2, s3, s2
	s_getreg_b32 s23, hwreg(HW_REG_IB_STS2, 6, 4)
	s_add_co_i32 s4, s4, s2
	s_cmp_eq_u32 s23, 0
	s_cselect_b32 s2, s3, s4
	s_mov_b32 s3, 0
	s_wait_kmcnt 0x0
	s_cmp_ge_u32 s2, s22
	s_cbranch_scc1 .LBB41_7
; %bb.1:
	s_clause 0x3
	s_load_b128 s[12:15], s[0:1], 0x40
	s_load_b128 s[16:19], s[0:1], 0x28
	s_load_b256 s[4:11], s[0:1], 0x8
	s_load_b64 s[20:21], s[0:1], 0x50
	s_bfe_u32 s24, ttmp6, 0x4000c
	s_and_b32 s25, ttmp6, 15
	s_add_co_i32 s24, s24, 1
	v_mov_b32_e32 v1, 0
	s_mul_i32 s24, ttmp9, s24
	s_wait_xcnt 0x0
	s_add_nc_u64 s[0:1], s[0:1], 0x68
	s_add_co_i32 s25, s25, s24
	s_cmp_eq_u32 s23, 0
	s_cselect_b32 s23, ttmp9, s25
	s_wait_kmcnt 0x0
	s_lshl_b64 s[14:15], s[14:15], 3
	s_lshl_b64 s[16:17], s[16:17], 3
	s_branch .LBB41_4
.LBB41_2:                               ;   in Loop: Header=BB41_4 Depth=1
	s_wait_xcnt 0x0
	s_or_b32 exec_lo, exec_lo, s24
.LBB41_3:                               ;   in Loop: Header=BB41_4 Depth=1
	s_add_co_i32 s2, s2, 0x10000
	s_delay_alu instid0(SALU_CYCLE_1)
	s_cmp_lt_u32 s2, s22
	s_cbranch_scc0 .LBB41_7
.LBB41_4:                               ; =>This Inner Loop Header: Depth=1
	s_wait_xcnt 0x0
	s_mul_u64 s[24:25], s[8:9], s[2:3]
	s_delay_alu instid0(SALU_CYCLE_1) | instskip(NEXT) | instid1(SALU_CYCLE_1)
	s_lshl_b64 s[24:25], s[24:25], 3
	s_add_nc_u64 s[24:25], s[6:7], s[24:25]
	global_load_b64 v[2:3], v1, s[24:25]
	s_wait_loadcnt 0x0
	v_cmp_eq_f64_e32 vcc_lo, 0, v[2:3]
	s_cbranch_vccnz .LBB41_3
; %bb.5:                                ;   in Loop: Header=BB41_4 Depth=1
	s_wait_xcnt 0x0
	s_load_b32 s24, s[0:1], 0xc
	s_wait_kmcnt 0x0
	s_and_b32 s24, s24, 0xffff
	s_delay_alu instid0(SALU_CYCLE_1) | instskip(SKIP_1) | instid1(VALU_DEP_1)
	v_mad_nc_u64_u32 v[4:5], s24, s23, v[0:1]
	s_mov_b32 s24, exec_lo
	v_cmpx_gt_u64_e64 s[4:5], v[4:5]
	s_cbranch_execz .LBB41_2
; %bb.6:                                ;   in Loop: Header=BB41_4 Depth=1
	v_lshlrev_b64_e32 v[6:7], 3, v[4:5]
	s_lshl_b64 s[26:27], s[2:3], 3
	s_delay_alu instid0(SALU_CYCLE_1) | instskip(SKIP_2) | instid1(VALU_DEP_1)
	s_add_nc_u64 s[28:29], s[10:11], s[26:27]
	s_add_nc_u64 s[26:27], s[12:13], s[26:27]
	s_load_b64 s[28:29], s[28:29], 0x0
	v_cvt_f64_u32_e32 v[8:9], v7
	s_delay_alu instid0(VALU_DEP_2) | instskip(SKIP_1) | instid1(VALU_DEP_1)
	v_or_b32_e32 v5, 1, v6
	s_load_b64 s[26:27], s[26:27], 0x0
	v_cvt_f64_u32_e32 v[6:7], v5
	s_wait_kmcnt 0x0
	s_wait_xcnt 0x0
	s_add_nc_u64 s[28:29], s[28:29], s[16:17]
	s_add_nc_u64 s[26:27], s[26:27], s[14:15]
	s_delay_alu instid0(VALU_DEP_3) | instskip(NEXT) | instid1(VALU_DEP_1)
	v_ldexp_f64 v[8:9], v[8:9], 32
	v_add_f64_e32 v[6:7], v[8:9], v[6:7]
	s_delay_alu instid0(VALU_DEP_1) | instskip(SKIP_1) | instid1(VALU_DEP_1)
	v_cmp_gt_f64_e32 vcc_lo, 0x10000000, v[6:7]
	v_cndmask_b32_e64 v5, 0, 0x100, vcc_lo
	v_ldexp_f64 v[6:7], v[6:7], v5
	v_cndmask_b32_e64 v5, 0, 0xffffff80, vcc_lo
	s_delay_alu instid0(VALU_DEP_2) | instskip(SKIP_1) | instid1(TRANS32_DEP_1)
	v_rsq_f64_e32 v[8:9], v[6:7]
	v_cmp_class_f64_e64 vcc_lo, v[6:7], 0x260
	v_mul_f64_e32 v[10:11], v[6:7], v[8:9]
	v_mul_f64_e32 v[8:9], 0.5, v[8:9]
	s_delay_alu instid0(VALU_DEP_1) | instskip(NEXT) | instid1(VALU_DEP_1)
	v_fma_f64 v[12:13], -v[8:9], v[10:11], 0.5
	v_fmac_f64_e32 v[10:11], v[10:11], v[12:13]
	v_fmac_f64_e32 v[8:9], v[8:9], v[12:13]
	s_delay_alu instid0(VALU_DEP_2) | instskip(NEXT) | instid1(VALU_DEP_1)
	v_fma_f64 v[12:13], -v[10:11], v[10:11], v[6:7]
	v_fmac_f64_e32 v[10:11], v[12:13], v[8:9]
	s_delay_alu instid0(VALU_DEP_1) | instskip(NEXT) | instid1(VALU_DEP_1)
	v_fma_f64 v[12:13], -v[10:11], v[10:11], v[6:7]
	v_fmac_f64_e32 v[10:11], v[12:13], v[8:9]
	s_delay_alu instid0(VALU_DEP_1) | instskip(NEXT) | instid1(VALU_DEP_1)
	v_ldexp_f64 v[8:9], v[10:11], v5
	v_dual_cndmask_b32 v7, v9, v7 :: v_dual_cndmask_b32 v6, v8, v6
	s_delay_alu instid0(VALU_DEP_1) | instskip(NEXT) | instid1(VALU_DEP_1)
	v_add_f64_e32 v[6:7], -1.0, v[6:7]
	v_mul_f64_e32 v[6:7], 0.5, v[6:7]
	s_delay_alu instid0(VALU_DEP_1) | instskip(NEXT) | instid1(VALU_DEP_1)
	v_cvt_i32_f64_e32 v6, v[6:7]
	v_mad_u32 v5, v6, v6, v6
	s_delay_alu instid0(VALU_DEP_1) | instskip(NEXT) | instid1(VALU_DEP_1)
	v_lshrrev_b32_e32 v7, 31, v5
	v_add_nc_u32_e32 v5, v5, v7
	s_delay_alu instid0(VALU_DEP_1) | instskip(NEXT) | instid1(VALU_DEP_1)
	v_ashrrev_i32_e32 v5, 1, v5
	v_sub_nc_u32_e32 v4, v4, v5
	s_delay_alu instid0(VALU_DEP_1) | instskip(NEXT) | instid1(VALU_DEP_1)
	v_ashrrev_i32_e32 v5, 31, v4
	v_mul_u64_e32 v[8:9], s[18:19], v[4:5]
	s_delay_alu instid0(VALU_DEP_1) | instskip(SKIP_3) | instid1(VALU_DEP_1)
	v_lshl_add_u64 v[8:9], v[8:9], 3, s[28:29]
	flat_load_b64 v[8:9], v[8:9]
	s_wait_loadcnt_dscnt 0x0
	v_dual_mul_f64 v[2:3], v[2:3], v[8:9] :: v_dual_ashrrev_i32 v7, 31, v6
	v_mul_u64_e32 v[10:11], s[20:21], v[6:7]
	v_mul_u64_e32 v[6:7], s[18:19], v[6:7]
	s_delay_alu instid0(VALU_DEP_2) | instskip(NEXT) | instid1(VALU_DEP_2)
	v_lshl_add_u64 v[10:11], v[10:11], 3, s[26:27]
	v_lshl_add_u64 v[6:7], v[6:7], 3, s[28:29]
	s_delay_alu instid0(VALU_DEP_2)
	v_lshl_add_u64 v[4:5], v[4:5], 3, v[10:11]
	flat_load_b64 v[10:11], v[6:7]
	flat_load_b64 v[12:13], v[4:5]
	s_wait_loadcnt_dscnt 0x0
	v_fmac_f64_e32 v[12:13], v[2:3], v[10:11]
	flat_store_b64 v[4:5], v[12:13]
	s_branch .LBB41_2
.LBB41_7:
	s_endpgm
	.section	.rodata,"a",@progbits
	.p2align	6, 0x0
	.amdhsa_kernel _ZL18rocblas_syr_kernelILb1ELi1024EdPKdPKS1_PKPdEvimT2_lT3_lllT4_llli
		.amdhsa_group_segment_fixed_size 0
		.amdhsa_private_segment_fixed_size 0
		.amdhsa_kernarg_size 360
		.amdhsa_user_sgpr_count 2
		.amdhsa_user_sgpr_dispatch_ptr 0
		.amdhsa_user_sgpr_queue_ptr 0
		.amdhsa_user_sgpr_kernarg_segment_ptr 1
		.amdhsa_user_sgpr_dispatch_id 0
		.amdhsa_user_sgpr_kernarg_preload_length 0
		.amdhsa_user_sgpr_kernarg_preload_offset 0
		.amdhsa_user_sgpr_private_segment_size 0
		.amdhsa_wavefront_size32 1
		.amdhsa_uses_dynamic_stack 0
		.amdhsa_enable_private_segment 0
		.amdhsa_system_sgpr_workgroup_id_x 1
		.amdhsa_system_sgpr_workgroup_id_y 0
		.amdhsa_system_sgpr_workgroup_id_z 1
		.amdhsa_system_sgpr_workgroup_info 0
		.amdhsa_system_vgpr_workitem_id 0
		.amdhsa_next_free_vgpr 14
		.amdhsa_next_free_sgpr 30
		.amdhsa_named_barrier_count 0
		.amdhsa_reserve_vcc 1
		.amdhsa_float_round_mode_32 0
		.amdhsa_float_round_mode_16_64 0
		.amdhsa_float_denorm_mode_32 3
		.amdhsa_float_denorm_mode_16_64 3
		.amdhsa_fp16_overflow 0
		.amdhsa_memory_ordered 1
		.amdhsa_forward_progress 1
		.amdhsa_inst_pref_size 6
		.amdhsa_round_robin_scheduling 0
		.amdhsa_exception_fp_ieee_invalid_op 0
		.amdhsa_exception_fp_denorm_src 0
		.amdhsa_exception_fp_ieee_div_zero 0
		.amdhsa_exception_fp_ieee_overflow 0
		.amdhsa_exception_fp_ieee_underflow 0
		.amdhsa_exception_fp_ieee_inexact 0
		.amdhsa_exception_int_div_zero 0
	.end_amdhsa_kernel
	.section	.text._ZL18rocblas_syr_kernelILb1ELi1024EdPKdPKS1_PKPdEvimT2_lT3_lllT4_llli,"axG",@progbits,_ZL18rocblas_syr_kernelILb1ELi1024EdPKdPKS1_PKPdEvimT2_lT3_lllT4_llli,comdat
.Lfunc_end41:
	.size	_ZL18rocblas_syr_kernelILb1ELi1024EdPKdPKS1_PKPdEvimT2_lT3_lllT4_llli, .Lfunc_end41-_ZL18rocblas_syr_kernelILb1ELi1024EdPKdPKS1_PKPdEvimT2_lT3_lllT4_llli
                                        ; -- End function
	.set _ZL18rocblas_syr_kernelILb1ELi1024EdPKdPKS1_PKPdEvimT2_lT3_lllT4_llli.num_vgpr, 14
	.set _ZL18rocblas_syr_kernelILb1ELi1024EdPKdPKS1_PKPdEvimT2_lT3_lllT4_llli.num_agpr, 0
	.set _ZL18rocblas_syr_kernelILb1ELi1024EdPKdPKS1_PKPdEvimT2_lT3_lllT4_llli.numbered_sgpr, 30
	.set _ZL18rocblas_syr_kernelILb1ELi1024EdPKdPKS1_PKPdEvimT2_lT3_lllT4_llli.num_named_barrier, 0
	.set _ZL18rocblas_syr_kernelILb1ELi1024EdPKdPKS1_PKPdEvimT2_lT3_lllT4_llli.private_seg_size, 0
	.set _ZL18rocblas_syr_kernelILb1ELi1024EdPKdPKS1_PKPdEvimT2_lT3_lllT4_llli.uses_vcc, 1
	.set _ZL18rocblas_syr_kernelILb1ELi1024EdPKdPKS1_PKPdEvimT2_lT3_lllT4_llli.uses_flat_scratch, 0
	.set _ZL18rocblas_syr_kernelILb1ELi1024EdPKdPKS1_PKPdEvimT2_lT3_lllT4_llli.has_dyn_sized_stack, 0
	.set _ZL18rocblas_syr_kernelILb1ELi1024EdPKdPKS1_PKPdEvimT2_lT3_lllT4_llli.has_recursion, 0
	.set _ZL18rocblas_syr_kernelILb1ELi1024EdPKdPKS1_PKPdEvimT2_lT3_lllT4_llli.has_indirect_call, 0
	.section	.AMDGPU.csdata,"",@progbits
; Kernel info:
; codeLenInByte = 716
; TotalNumSgprs: 32
; NumVgprs: 14
; ScratchSize: 0
; MemoryBound: 0
; FloatMode: 240
; IeeeMode: 1
; LDSByteSize: 0 bytes/workgroup (compile time only)
; SGPRBlocks: 0
; VGPRBlocks: 0
; NumSGPRsForWavesPerEU: 32
; NumVGPRsForWavesPerEU: 14
; NamedBarCnt: 0
; Occupancy: 16
; WaveLimiterHint : 1
; COMPUTE_PGM_RSRC2:SCRATCH_EN: 0
; COMPUTE_PGM_RSRC2:USER_SGPR: 2
; COMPUTE_PGM_RSRC2:TRAP_HANDLER: 0
; COMPUTE_PGM_RSRC2:TGID_X_EN: 1
; COMPUTE_PGM_RSRC2:TGID_Y_EN: 0
; COMPUTE_PGM_RSRC2:TGID_Z_EN: 1
; COMPUTE_PGM_RSRC2:TIDIG_COMP_CNT: 0
	.section	.text._ZL23rocblas_syr_kernel_inc1ILb0ELi1024EdPKdPKS1_PKPdEvimT2_lT3_llT4_llli,"axG",@progbits,_ZL23rocblas_syr_kernel_inc1ILb0ELi1024EdPKdPKS1_PKPdEvimT2_lT3_llT4_llli,comdat
	.globl	_ZL23rocblas_syr_kernel_inc1ILb0ELi1024EdPKdPKS1_PKPdEvimT2_lT3_llT4_llli ; -- Begin function _ZL23rocblas_syr_kernel_inc1ILb0ELi1024EdPKdPKS1_PKPdEvimT2_lT3_llT4_llli
	.p2align	8
	.type	_ZL23rocblas_syr_kernel_inc1ILb0ELi1024EdPKdPKS1_PKPdEvimT2_lT3_llT4_llli,@function
_ZL23rocblas_syr_kernel_inc1ILb0ELi1024EdPKdPKS1_PKPdEvimT2_lT3_llT4_llli: ; @_ZL23rocblas_syr_kernel_inc1ILb0ELi1024EdPKdPKS1_PKPdEvimT2_lT3_llT4_llli
; %bb.0:
	s_load_b32 s22, s[0:1], 0x58
	s_bfe_u32 s2, ttmp6, 0x40014
	s_lshr_b32 s3, ttmp7, 16
	s_add_co_i32 s2, s2, 1
	s_bfe_u32 s4, ttmp6, 0x40008
	s_mul_i32 s2, s3, s2
	s_getreg_b32 s20, hwreg(HW_REG_IB_STS2, 6, 4)
	s_add_co_i32 s4, s4, s2
	s_cmp_eq_u32 s20, 0
	s_cselect_b32 s2, s3, s4
	s_mov_b32 s3, 0
	s_wait_kmcnt 0x0
	s_cmp_ge_u32 s2, s22
	s_cbranch_scc1 .LBB42_7
; %bb.1:
	s_clause 0x4
	s_load_b32 s16, s[0:1], 0x0
	s_load_b128 s[12:15], s[0:1], 0x38
	s_load_b64 s[26:27], s[0:1], 0x28
	s_load_b256 s[4:11], s[0:1], 0x8
	s_load_b64 s[18:19], s[0:1], 0x48
	s_bfe_u32 s17, ttmp6, 0x4000c
	s_and_b32 s21, ttmp6, 15
	s_add_co_i32 s17, s17, 1
	v_mov_b32_e32 v1, 0
	s_mul_i32 s17, ttmp9, s17
	s_wait_xcnt 0x0
	s_add_nc_u64 s[0:1], s[0:1], 0x60
	s_add_co_i32 s21, s21, s17
	s_wait_kmcnt 0x0
	s_ashr_i32 s17, s16, 31
	s_cmp_eq_u32 s20, 0
	s_cselect_b32 s23, ttmp9, s21
	s_add_co_i32 s24, s16, -1
	s_lshl_b64 s[14:15], s[14:15], 3
	s_lshl_b64 s[20:21], s[26:27], 3
	s_branch .LBB42_4
.LBB42_2:                               ;   in Loop: Header=BB42_4 Depth=1
	s_wait_xcnt 0x0
	s_or_b32 exec_lo, exec_lo, s25
.LBB42_3:                               ;   in Loop: Header=BB42_4 Depth=1
	s_add_co_i32 s2, s2, 0x10000
	s_delay_alu instid0(SALU_CYCLE_1)
	s_cmp_lt_u32 s2, s22
	s_cbranch_scc0 .LBB42_7
.LBB42_4:                               ; =>This Inner Loop Header: Depth=1
	s_wait_xcnt 0x0
	s_mul_u64 s[26:27], s[8:9], s[2:3]
	s_delay_alu instid0(SALU_CYCLE_1) | instskip(NEXT) | instid1(SALU_CYCLE_1)
	s_lshl_b64 s[26:27], s[26:27], 3
	s_add_nc_u64 s[26:27], s[6:7], s[26:27]
	global_load_b64 v[2:3], v1, s[26:27]
	s_wait_loadcnt 0x0
	v_cmp_eq_f64_e32 vcc_lo, 0, v[2:3]
	s_cbranch_vccnz .LBB42_3
; %bb.5:                                ;   in Loop: Header=BB42_4 Depth=1
	s_load_b32 s25, s[0:1], 0xc
	s_wait_kmcnt 0x0
	s_and_b32 s25, s25, 0xffff
	s_delay_alu instid0(SALU_CYCLE_1) | instskip(SKIP_1) | instid1(VALU_DEP_1)
	v_mad_nc_u64_u32 v[4:5], s25, s23, v[0:1]
	s_mov_b32 s25, exec_lo
	v_cmpx_gt_u64_e64 s[4:5], v[4:5]
	s_cbranch_execz .LBB42_2
; %bb.6:                                ;   in Loop: Header=BB42_4 Depth=1
	v_not_b32_e32 v5, v5
	v_not_b32_e32 v4, v4
	s_lshl_b64 s[26:27], s[2:3], 3
	s_delay_alu instid0(SALU_CYCLE_1) | instskip(SKIP_1) | instid1(VALU_DEP_1)
	s_add_nc_u64 s[28:29], s[10:11], s[26:27]
	s_add_nc_u64 s[26:27], s[12:13], s[26:27]
	v_add_nc_u64_e32 v[4:5], s[4:5], v[4:5]
	s_load_b64 s[28:29], s[28:29], 0x0
	s_delay_alu instid0(VALU_DEP_1) | instskip(SKIP_1) | instid1(VALU_DEP_1)
	v_lshlrev_b64_e32 v[6:7], 3, v[4:5]
	s_load_b64 s[26:27], s[26:27], 0x0
	v_cvt_f64_u32_e32 v[8:9], v7
	s_delay_alu instid0(VALU_DEP_2) | instskip(NEXT) | instid1(VALU_DEP_1)
	v_or_b32_e32 v5, 1, v6
	v_cvt_f64_u32_e32 v[6:7], v5
	s_wait_kmcnt 0x0
	s_wait_xcnt 0x0
	s_add_nc_u64 s[28:29], s[28:29], s[20:21]
	s_add_nc_u64 s[26:27], s[26:27], s[14:15]
	s_delay_alu instid0(VALU_DEP_3) | instskip(NEXT) | instid1(VALU_DEP_1)
	v_ldexp_f64 v[8:9], v[8:9], 32
	v_add_f64_e32 v[6:7], v[8:9], v[6:7]
	s_delay_alu instid0(VALU_DEP_1) | instskip(SKIP_1) | instid1(VALU_DEP_1)
	v_cmp_gt_f64_e32 vcc_lo, 0x10000000, v[6:7]
	v_cndmask_b32_e64 v5, 0, 0x100, vcc_lo
	v_ldexp_f64 v[6:7], v[6:7], v5
	v_cndmask_b32_e64 v5, 0, 0xffffff80, vcc_lo
	s_delay_alu instid0(VALU_DEP_2) | instskip(SKIP_1) | instid1(TRANS32_DEP_1)
	v_rsq_f64_e32 v[8:9], v[6:7]
	v_cmp_class_f64_e64 vcc_lo, v[6:7], 0x260
	v_mul_f64_e32 v[10:11], v[6:7], v[8:9]
	v_mul_f64_e32 v[8:9], 0.5, v[8:9]
	s_delay_alu instid0(VALU_DEP_1) | instskip(NEXT) | instid1(VALU_DEP_1)
	v_fma_f64 v[12:13], -v[8:9], v[10:11], 0.5
	v_fmac_f64_e32 v[10:11], v[10:11], v[12:13]
	v_fmac_f64_e32 v[8:9], v[8:9], v[12:13]
	s_delay_alu instid0(VALU_DEP_2) | instskip(NEXT) | instid1(VALU_DEP_1)
	v_fma_f64 v[12:13], -v[10:11], v[10:11], v[6:7]
	v_fmac_f64_e32 v[10:11], v[12:13], v[8:9]
	s_delay_alu instid0(VALU_DEP_1) | instskip(NEXT) | instid1(VALU_DEP_1)
	v_fma_f64 v[12:13], -v[10:11], v[10:11], v[6:7]
	v_fmac_f64_e32 v[10:11], v[12:13], v[8:9]
	s_delay_alu instid0(VALU_DEP_1) | instskip(NEXT) | instid1(VALU_DEP_1)
	v_ldexp_f64 v[8:9], v[10:11], v5
	v_dual_cndmask_b32 v7, v9, v7 :: v_dual_cndmask_b32 v6, v8, v6
	s_delay_alu instid0(VALU_DEP_1) | instskip(NEXT) | instid1(VALU_DEP_1)
	v_add_f64_e32 v[6:7], -1.0, v[6:7]
	v_mul_f64_e32 v[6:7], 0.5, v[6:7]
	s_delay_alu instid0(VALU_DEP_1) | instskip(NEXT) | instid1(VALU_DEP_1)
	v_cvt_i32_f64_e32 v6, v[6:7]
	v_mad_u32 v5, v6, v6, v6
	v_sub_nc_u32_e32 v8, s24, v6
	s_delay_alu instid0(VALU_DEP_1) | instskip(NEXT) | instid1(VALU_DEP_1)
	v_dual_ashrrev_i32 v9, 31, v8 :: v_dual_lshrrev_b32 v7, 31, v5
	v_dual_add_nc_u32 v5, v5, v7 :: v_dual_sub_nc_u32 v7, s24, v4
	s_delay_alu instid0(VALU_DEP_1) | instskip(NEXT) | instid1(VALU_DEP_3)
	v_ashrrev_i32_e32 v10, 1, v5
	v_mul_u64_e32 v[4:5], s[18:19], v[8:9]
	s_delay_alu instid0(VALU_DEP_2) | instskip(SKIP_4) | instid1(VALU_DEP_2)
	v_add_nc_u32_e32 v8, v7, v10
	v_ashrrev_i32_e32 v7, 31, v6
	flat_load_b64 v[10:11], v8, s[28:29] scale_offset
	v_sub_nc_u64_e32 v[6:7], s[16:17], v[6:7]
	v_ashrrev_i32_e32 v9, 31, v8
	v_lshl_add_u64 v[6:7], v[6:7], 3, s[28:29]
	v_lshl_add_u64 v[4:5], v[4:5], 3, s[26:27]
	s_delay_alu instid0(VALU_DEP_1)
	v_lshl_add_u64 v[4:5], v[8:9], 3, v[4:5]
	flat_load_b64 v[8:9], v[6:7] offset:-8
	flat_load_b64 v[12:13], v[4:5]
	s_wait_loadcnt_dscnt 0x202
	v_mul_f64_e32 v[2:3], v[2:3], v[10:11]
	s_wait_loadcnt_dscnt 0x0
	s_delay_alu instid0(VALU_DEP_1)
	v_fmac_f64_e32 v[12:13], v[2:3], v[8:9]
	flat_store_b64 v[4:5], v[12:13]
	s_branch .LBB42_2
.LBB42_7:
	s_endpgm
	.section	.rodata,"a",@progbits
	.p2align	6, 0x0
	.amdhsa_kernel _ZL23rocblas_syr_kernel_inc1ILb0ELi1024EdPKdPKS1_PKPdEvimT2_lT3_llT4_llli
		.amdhsa_group_segment_fixed_size 0
		.amdhsa_private_segment_fixed_size 0
		.amdhsa_kernarg_size 352
		.amdhsa_user_sgpr_count 2
		.amdhsa_user_sgpr_dispatch_ptr 0
		.amdhsa_user_sgpr_queue_ptr 0
		.amdhsa_user_sgpr_kernarg_segment_ptr 1
		.amdhsa_user_sgpr_dispatch_id 0
		.amdhsa_user_sgpr_kernarg_preload_length 0
		.amdhsa_user_sgpr_kernarg_preload_offset 0
		.amdhsa_user_sgpr_private_segment_size 0
		.amdhsa_wavefront_size32 1
		.amdhsa_uses_dynamic_stack 0
		.amdhsa_enable_private_segment 0
		.amdhsa_system_sgpr_workgroup_id_x 1
		.amdhsa_system_sgpr_workgroup_id_y 0
		.amdhsa_system_sgpr_workgroup_id_z 1
		.amdhsa_system_sgpr_workgroup_info 0
		.amdhsa_system_vgpr_workitem_id 0
		.amdhsa_next_free_vgpr 14
		.amdhsa_next_free_sgpr 30
		.amdhsa_named_barrier_count 0
		.amdhsa_reserve_vcc 1
		.amdhsa_float_round_mode_32 0
		.amdhsa_float_round_mode_16_64 0
		.amdhsa_float_denorm_mode_32 3
		.amdhsa_float_denorm_mode_16_64 3
		.amdhsa_fp16_overflow 0
		.amdhsa_memory_ordered 1
		.amdhsa_forward_progress 1
		.amdhsa_inst_pref_size 6
		.amdhsa_round_robin_scheduling 0
		.amdhsa_exception_fp_ieee_invalid_op 0
		.amdhsa_exception_fp_denorm_src 0
		.amdhsa_exception_fp_ieee_div_zero 0
		.amdhsa_exception_fp_ieee_overflow 0
		.amdhsa_exception_fp_ieee_underflow 0
		.amdhsa_exception_fp_ieee_inexact 0
		.amdhsa_exception_int_div_zero 0
	.end_amdhsa_kernel
	.section	.text._ZL23rocblas_syr_kernel_inc1ILb0ELi1024EdPKdPKS1_PKPdEvimT2_lT3_llT4_llli,"axG",@progbits,_ZL23rocblas_syr_kernel_inc1ILb0ELi1024EdPKdPKS1_PKPdEvimT2_lT3_llT4_llli,comdat
.Lfunc_end42:
	.size	_ZL23rocblas_syr_kernel_inc1ILb0ELi1024EdPKdPKS1_PKPdEvimT2_lT3_llT4_llli, .Lfunc_end42-_ZL23rocblas_syr_kernel_inc1ILb0ELi1024EdPKdPKS1_PKPdEvimT2_lT3_llT4_llli
                                        ; -- End function
	.set _ZL23rocblas_syr_kernel_inc1ILb0ELi1024EdPKdPKS1_PKPdEvimT2_lT3_llT4_llli.num_vgpr, 14
	.set _ZL23rocblas_syr_kernel_inc1ILb0ELi1024EdPKdPKS1_PKPdEvimT2_lT3_llT4_llli.num_agpr, 0
	.set _ZL23rocblas_syr_kernel_inc1ILb0ELi1024EdPKdPKS1_PKPdEvimT2_lT3_llT4_llli.numbered_sgpr, 30
	.set _ZL23rocblas_syr_kernel_inc1ILb0ELi1024EdPKdPKS1_PKPdEvimT2_lT3_llT4_llli.num_named_barrier, 0
	.set _ZL23rocblas_syr_kernel_inc1ILb0ELi1024EdPKdPKS1_PKPdEvimT2_lT3_llT4_llli.private_seg_size, 0
	.set _ZL23rocblas_syr_kernel_inc1ILb0ELi1024EdPKdPKS1_PKPdEvimT2_lT3_llT4_llli.uses_vcc, 1
	.set _ZL23rocblas_syr_kernel_inc1ILb0ELi1024EdPKdPKS1_PKPdEvimT2_lT3_llT4_llli.uses_flat_scratch, 0
	.set _ZL23rocblas_syr_kernel_inc1ILb0ELi1024EdPKdPKS1_PKPdEvimT2_lT3_llT4_llli.has_dyn_sized_stack, 0
	.set _ZL23rocblas_syr_kernel_inc1ILb0ELi1024EdPKdPKS1_PKPdEvimT2_lT3_llT4_llli.has_recursion, 0
	.set _ZL23rocblas_syr_kernel_inc1ILb0ELi1024EdPKdPKS1_PKPdEvimT2_lT3_llT4_llli.has_indirect_call, 0
	.section	.AMDGPU.csdata,"",@progbits
; Kernel info:
; codeLenInByte = 744
; TotalNumSgprs: 32
; NumVgprs: 14
; ScratchSize: 0
; MemoryBound: 0
; FloatMode: 240
; IeeeMode: 1
; LDSByteSize: 0 bytes/workgroup (compile time only)
; SGPRBlocks: 0
; VGPRBlocks: 0
; NumSGPRsForWavesPerEU: 32
; NumVGPRsForWavesPerEU: 14
; NamedBarCnt: 0
; Occupancy: 16
; WaveLimiterHint : 1
; COMPUTE_PGM_RSRC2:SCRATCH_EN: 0
; COMPUTE_PGM_RSRC2:USER_SGPR: 2
; COMPUTE_PGM_RSRC2:TRAP_HANDLER: 0
; COMPUTE_PGM_RSRC2:TGID_X_EN: 1
; COMPUTE_PGM_RSRC2:TGID_Y_EN: 0
; COMPUTE_PGM_RSRC2:TGID_Z_EN: 1
; COMPUTE_PGM_RSRC2:TIDIG_COMP_CNT: 0
	.section	.text._ZL18rocblas_syr_kernelILb0ELi1024EdPKdPKS1_PKPdEvimT2_lT3_lllT4_llli,"axG",@progbits,_ZL18rocblas_syr_kernelILb0ELi1024EdPKdPKS1_PKPdEvimT2_lT3_lllT4_llli,comdat
	.globl	_ZL18rocblas_syr_kernelILb0ELi1024EdPKdPKS1_PKPdEvimT2_lT3_lllT4_llli ; -- Begin function _ZL18rocblas_syr_kernelILb0ELi1024EdPKdPKS1_PKPdEvimT2_lT3_lllT4_llli
	.p2align	8
	.type	_ZL18rocblas_syr_kernelILb0ELi1024EdPKdPKS1_PKPdEvimT2_lT3_lllT4_llli,@function
_ZL18rocblas_syr_kernelILb0ELi1024EdPKdPKS1_PKPdEvimT2_lT3_lllT4_llli: ; @_ZL18rocblas_syr_kernelILb0ELi1024EdPKdPKS1_PKPdEvimT2_lT3_lllT4_llli
; %bb.0:
	s_load_b32 s22, s[0:1], 0x60
	s_bfe_u32 s2, ttmp6, 0x40014
	s_lshr_b32 s3, ttmp7, 16
	s_add_co_i32 s2, s2, 1
	s_bfe_u32 s4, ttmp6, 0x40008
	s_mul_i32 s2, s3, s2
	s_getreg_b32 s23, hwreg(HW_REG_IB_STS2, 6, 4)
	s_add_co_i32 s4, s4, s2
	s_cmp_eq_u32 s23, 0
	s_cselect_b32 s2, s3, s4
	s_mov_b32 s3, 0
	s_wait_kmcnt 0x0
	s_cmp_ge_u32 s2, s22
	s_cbranch_scc1 .LBB43_7
; %bb.1:
	s_clause 0x4
	s_load_b32 s24, s[0:1], 0x0
	s_load_b128 s[12:15], s[0:1], 0x40
	s_load_b128 s[16:19], s[0:1], 0x28
	s_load_b256 s[4:11], s[0:1], 0x8
	s_load_b64 s[20:21], s[0:1], 0x50
	s_bfe_u32 s25, ttmp6, 0x4000c
	s_and_b32 s26, ttmp6, 15
	s_add_co_i32 s25, s25, 1
	v_mov_b32_e32 v1, 0
	s_mul_i32 s25, ttmp9, s25
	s_wait_xcnt 0x0
	s_add_nc_u64 s[0:1], s[0:1], 0x68
	s_add_co_i32 s26, s26, s25
	s_cmp_eq_u32 s23, 0
	s_cselect_b32 s23, ttmp9, s26
	s_wait_kmcnt 0x0
	s_add_co_i32 s24, s24, -1
	s_lshl_b64 s[14:15], s[14:15], 3
	s_lshl_b64 s[16:17], s[16:17], 3
	s_branch .LBB43_4
.LBB43_2:                               ;   in Loop: Header=BB43_4 Depth=1
	s_wait_xcnt 0x0
	s_or_b32 exec_lo, exec_lo, s25
.LBB43_3:                               ;   in Loop: Header=BB43_4 Depth=1
	s_add_co_i32 s2, s2, 0x10000
	s_delay_alu instid0(SALU_CYCLE_1)
	s_cmp_lt_u32 s2, s22
	s_cbranch_scc0 .LBB43_7
.LBB43_4:                               ; =>This Inner Loop Header: Depth=1
	s_wait_xcnt 0x0
	s_mul_u64 s[26:27], s[8:9], s[2:3]
	s_delay_alu instid0(SALU_CYCLE_1) | instskip(NEXT) | instid1(SALU_CYCLE_1)
	s_lshl_b64 s[26:27], s[26:27], 3
	s_add_nc_u64 s[26:27], s[6:7], s[26:27]
	global_load_b64 v[2:3], v1, s[26:27]
	s_wait_loadcnt 0x0
	v_cmp_eq_f64_e32 vcc_lo, 0, v[2:3]
	s_cbranch_vccnz .LBB43_3
; %bb.5:                                ;   in Loop: Header=BB43_4 Depth=1
	s_load_b32 s25, s[0:1], 0xc
	s_wait_kmcnt 0x0
	s_and_b32 s25, s25, 0xffff
	s_delay_alu instid0(SALU_CYCLE_1) | instskip(SKIP_1) | instid1(VALU_DEP_1)
	v_mad_nc_u64_u32 v[4:5], s25, s23, v[0:1]
	s_mov_b32 s25, exec_lo
	v_cmpx_gt_u64_e64 s[4:5], v[4:5]
	s_cbranch_execz .LBB43_2
; %bb.6:                                ;   in Loop: Header=BB43_4 Depth=1
	v_not_b32_e32 v5, v5
	v_not_b32_e32 v4, v4
	s_lshl_b64 s[26:27], s[2:3], 3
	s_delay_alu instid0(SALU_CYCLE_1) | instskip(SKIP_1) | instid1(VALU_DEP_1)
	s_add_nc_u64 s[28:29], s[10:11], s[26:27]
	s_add_nc_u64 s[26:27], s[12:13], s[26:27]
	v_add_nc_u64_e32 v[4:5], s[4:5], v[4:5]
	s_load_b64 s[28:29], s[28:29], 0x0
	s_delay_alu instid0(VALU_DEP_1) | instskip(SKIP_2) | instid1(VALU_DEP_2)
	v_lshlrev_b64_e32 v[6:7], 3, v[4:5]
	s_load_b64 s[26:27], s[26:27], 0x0
	v_sub_nc_u32_e32 v4, s24, v4
	v_cvt_f64_u32_e32 v[8:9], v7
	s_delay_alu instid0(VALU_DEP_3) | instskip(NEXT) | instid1(VALU_DEP_1)
	v_or_b32_e32 v5, 1, v6
	v_cvt_f64_u32_e32 v[6:7], v5
	s_wait_kmcnt 0x0
	s_wait_xcnt 0x0
	s_add_nc_u64 s[28:29], s[28:29], s[16:17]
	s_add_nc_u64 s[26:27], s[26:27], s[14:15]
	s_delay_alu instid0(VALU_DEP_3) | instskip(NEXT) | instid1(VALU_DEP_1)
	v_ldexp_f64 v[8:9], v[8:9], 32
	v_add_f64_e32 v[6:7], v[8:9], v[6:7]
	s_delay_alu instid0(VALU_DEP_1) | instskip(SKIP_1) | instid1(VALU_DEP_1)
	v_cmp_gt_f64_e32 vcc_lo, 0x10000000, v[6:7]
	v_cndmask_b32_e64 v5, 0, 0x100, vcc_lo
	v_ldexp_f64 v[6:7], v[6:7], v5
	v_cndmask_b32_e64 v5, 0, 0xffffff80, vcc_lo
	s_delay_alu instid0(VALU_DEP_2) | instskip(SKIP_1) | instid1(TRANS32_DEP_1)
	v_rsq_f64_e32 v[8:9], v[6:7]
	v_cmp_class_f64_e64 vcc_lo, v[6:7], 0x260
	v_mul_f64_e32 v[10:11], v[6:7], v[8:9]
	v_mul_f64_e32 v[8:9], 0.5, v[8:9]
	s_delay_alu instid0(VALU_DEP_1) | instskip(NEXT) | instid1(VALU_DEP_1)
	v_fma_f64 v[12:13], -v[8:9], v[10:11], 0.5
	v_fmac_f64_e32 v[10:11], v[10:11], v[12:13]
	v_fmac_f64_e32 v[8:9], v[8:9], v[12:13]
	s_delay_alu instid0(VALU_DEP_2) | instskip(NEXT) | instid1(VALU_DEP_1)
	v_fma_f64 v[12:13], -v[10:11], v[10:11], v[6:7]
	v_fmac_f64_e32 v[10:11], v[12:13], v[8:9]
	s_delay_alu instid0(VALU_DEP_1) | instskip(NEXT) | instid1(VALU_DEP_1)
	v_fma_f64 v[12:13], -v[10:11], v[10:11], v[6:7]
	v_fmac_f64_e32 v[10:11], v[12:13], v[8:9]
	s_delay_alu instid0(VALU_DEP_1) | instskip(NEXT) | instid1(VALU_DEP_1)
	v_ldexp_f64 v[8:9], v[10:11], v5
	v_dual_cndmask_b32 v7, v9, v7 :: v_dual_cndmask_b32 v6, v8, v6
	s_delay_alu instid0(VALU_DEP_1) | instskip(NEXT) | instid1(VALU_DEP_1)
	v_add_f64_e32 v[6:7], -1.0, v[6:7]
	v_mul_f64_e32 v[6:7], 0.5, v[6:7]
	s_delay_alu instid0(VALU_DEP_1) | instskip(NEXT) | instid1(VALU_DEP_1)
	v_cvt_i32_f64_e32 v8, v[6:7]
	v_mad_u32 v5, v8, v8, v8
	s_delay_alu instid0(VALU_DEP_1) | instskip(NEXT) | instid1(VALU_DEP_1)
	v_lshrrev_b32_e32 v6, 31, v5
	v_add_nc_u32_e32 v5, v5, v6
	s_delay_alu instid0(VALU_DEP_1) | instskip(NEXT) | instid1(VALU_DEP_1)
	v_ashrrev_i32_e32 v5, 1, v5
	v_add_nc_u32_e32 v4, v4, v5
	s_delay_alu instid0(VALU_DEP_1) | instskip(NEXT) | instid1(VALU_DEP_1)
	v_ashrrev_i32_e32 v5, 31, v4
	v_mul_u64_e32 v[6:7], s[18:19], v[4:5]
	s_delay_alu instid0(VALU_DEP_1) | instskip(SKIP_3) | instid1(VALU_DEP_1)
	v_lshl_add_u64 v[6:7], v[6:7], 3, s[28:29]
	flat_load_b64 v[6:7], v[6:7]
	s_wait_loadcnt_dscnt 0x0
	v_dual_mul_f64 v[2:3], v[2:3], v[6:7] :: v_dual_sub_nc_u32 v8, s24, v8
	v_ashrrev_i32_e32 v9, 31, v8
	s_delay_alu instid0(VALU_DEP_1) | instskip(SKIP_1) | instid1(VALU_DEP_2)
	v_mul_u64_e32 v[10:11], s[20:21], v[8:9]
	v_mul_u64_e32 v[8:9], s[18:19], v[8:9]
	v_lshl_add_u64 v[10:11], v[10:11], 3, s[26:27]
	s_delay_alu instid0(VALU_DEP_2) | instskip(NEXT) | instid1(VALU_DEP_2)
	v_lshl_add_u64 v[8:9], v[8:9], 3, s[28:29]
	v_lshl_add_u64 v[4:5], v[4:5], 3, v[10:11]
	flat_load_b64 v[10:11], v[8:9]
	flat_load_b64 v[12:13], v[4:5]
	s_wait_loadcnt_dscnt 0x0
	v_fmac_f64_e32 v[12:13], v[2:3], v[10:11]
	flat_store_b64 v[4:5], v[12:13]
	s_branch .LBB43_2
.LBB43_7:
	s_endpgm
	.section	.rodata,"a",@progbits
	.p2align	6, 0x0
	.amdhsa_kernel _ZL18rocblas_syr_kernelILb0ELi1024EdPKdPKS1_PKPdEvimT2_lT3_lllT4_llli
		.amdhsa_group_segment_fixed_size 0
		.amdhsa_private_segment_fixed_size 0
		.amdhsa_kernarg_size 360
		.amdhsa_user_sgpr_count 2
		.amdhsa_user_sgpr_dispatch_ptr 0
		.amdhsa_user_sgpr_queue_ptr 0
		.amdhsa_user_sgpr_kernarg_segment_ptr 1
		.amdhsa_user_sgpr_dispatch_id 0
		.amdhsa_user_sgpr_kernarg_preload_length 0
		.amdhsa_user_sgpr_kernarg_preload_offset 0
		.amdhsa_user_sgpr_private_segment_size 0
		.amdhsa_wavefront_size32 1
		.amdhsa_uses_dynamic_stack 0
		.amdhsa_enable_private_segment 0
		.amdhsa_system_sgpr_workgroup_id_x 1
		.amdhsa_system_sgpr_workgroup_id_y 0
		.amdhsa_system_sgpr_workgroup_id_z 1
		.amdhsa_system_sgpr_workgroup_info 0
		.amdhsa_system_vgpr_workitem_id 0
		.amdhsa_next_free_vgpr 14
		.amdhsa_next_free_sgpr 30
		.amdhsa_named_barrier_count 0
		.amdhsa_reserve_vcc 1
		.amdhsa_float_round_mode_32 0
		.amdhsa_float_round_mode_16_64 0
		.amdhsa_float_denorm_mode_32 3
		.amdhsa_float_denorm_mode_16_64 3
		.amdhsa_fp16_overflow 0
		.amdhsa_memory_ordered 1
		.amdhsa_forward_progress 1
		.amdhsa_inst_pref_size 6
		.amdhsa_round_robin_scheduling 0
		.amdhsa_exception_fp_ieee_invalid_op 0
		.amdhsa_exception_fp_denorm_src 0
		.amdhsa_exception_fp_ieee_div_zero 0
		.amdhsa_exception_fp_ieee_overflow 0
		.amdhsa_exception_fp_ieee_underflow 0
		.amdhsa_exception_fp_ieee_inexact 0
		.amdhsa_exception_int_div_zero 0
	.end_amdhsa_kernel
	.section	.text._ZL18rocblas_syr_kernelILb0ELi1024EdPKdPKS1_PKPdEvimT2_lT3_lllT4_llli,"axG",@progbits,_ZL18rocblas_syr_kernelILb0ELi1024EdPKdPKS1_PKPdEvimT2_lT3_lllT4_llli,comdat
.Lfunc_end43:
	.size	_ZL18rocblas_syr_kernelILb0ELi1024EdPKdPKS1_PKPdEvimT2_lT3_lllT4_llli, .Lfunc_end43-_ZL18rocblas_syr_kernelILb0ELi1024EdPKdPKS1_PKPdEvimT2_lT3_lllT4_llli
                                        ; -- End function
	.set _ZL18rocblas_syr_kernelILb0ELi1024EdPKdPKS1_PKPdEvimT2_lT3_lllT4_llli.num_vgpr, 14
	.set _ZL18rocblas_syr_kernelILb0ELi1024EdPKdPKS1_PKPdEvimT2_lT3_lllT4_llli.num_agpr, 0
	.set _ZL18rocblas_syr_kernelILb0ELi1024EdPKdPKS1_PKPdEvimT2_lT3_lllT4_llli.numbered_sgpr, 30
	.set _ZL18rocblas_syr_kernelILb0ELi1024EdPKdPKS1_PKPdEvimT2_lT3_lllT4_llli.num_named_barrier, 0
	.set _ZL18rocblas_syr_kernelILb0ELi1024EdPKdPKS1_PKPdEvimT2_lT3_lllT4_llli.private_seg_size, 0
	.set _ZL18rocblas_syr_kernelILb0ELi1024EdPKdPKS1_PKPdEvimT2_lT3_lllT4_llli.uses_vcc, 1
	.set _ZL18rocblas_syr_kernelILb0ELi1024EdPKdPKS1_PKPdEvimT2_lT3_lllT4_llli.uses_flat_scratch, 0
	.set _ZL18rocblas_syr_kernelILb0ELi1024EdPKdPKS1_PKPdEvimT2_lT3_lllT4_llli.has_dyn_sized_stack, 0
	.set _ZL18rocblas_syr_kernelILb0ELi1024EdPKdPKS1_PKPdEvimT2_lT3_lllT4_llli.has_recursion, 0
	.set _ZL18rocblas_syr_kernelILb0ELi1024EdPKdPKS1_PKPdEvimT2_lT3_lllT4_llli.has_indirect_call, 0
	.section	.AMDGPU.csdata,"",@progbits
; Kernel info:
; codeLenInByte = 748
; TotalNumSgprs: 32
; NumVgprs: 14
; ScratchSize: 0
; MemoryBound: 0
; FloatMode: 240
; IeeeMode: 1
; LDSByteSize: 0 bytes/workgroup (compile time only)
; SGPRBlocks: 0
; VGPRBlocks: 0
; NumSGPRsForWavesPerEU: 32
; NumVGPRsForWavesPerEU: 14
; NamedBarCnt: 0
; Occupancy: 16
; WaveLimiterHint : 1
; COMPUTE_PGM_RSRC2:SCRATCH_EN: 0
; COMPUTE_PGM_RSRC2:USER_SGPR: 2
; COMPUTE_PGM_RSRC2:TRAP_HANDLER: 0
; COMPUTE_PGM_RSRC2:TGID_X_EN: 1
; COMPUTE_PGM_RSRC2:TGID_Y_EN: 0
; COMPUTE_PGM_RSRC2:TGID_Z_EN: 1
; COMPUTE_PGM_RSRC2:TIDIG_COMP_CNT: 0
	.section	.text._ZL23rocblas_syr_kernel_inc1ILb1ELi1024EddPKPKdPKPdEvimT2_lT3_llT4_llli,"axG",@progbits,_ZL23rocblas_syr_kernel_inc1ILb1ELi1024EddPKPKdPKPdEvimT2_lT3_llT4_llli,comdat
	.globl	_ZL23rocblas_syr_kernel_inc1ILb1ELi1024EddPKPKdPKPdEvimT2_lT3_llT4_llli ; -- Begin function _ZL23rocblas_syr_kernel_inc1ILb1ELi1024EddPKPKdPKPdEvimT2_lT3_llT4_llli
	.p2align	8
	.type	_ZL23rocblas_syr_kernel_inc1ILb1ELi1024EddPKPKdPKPdEvimT2_lT3_llT4_llli,@function
_ZL23rocblas_syr_kernel_inc1ILb1ELi1024EddPKPKdPKPdEvimT2_lT3_llT4_llli: ; @_ZL23rocblas_syr_kernel_inc1ILb1ELi1024EddPKPKdPKPdEvimT2_lT3_llT4_llli
; %bb.0:
	s_load_b32 s16, s[0:1], 0x58
	s_bfe_u32 s2, ttmp6, 0x40014
	s_lshr_b32 s3, ttmp7, 16
	s_add_co_i32 s2, s2, 1
	s_bfe_u32 s4, ttmp6, 0x40008
	s_mul_i32 s2, s3, s2
	s_getreg_b32 s18, hwreg(HW_REG_IB_STS2, 6, 4)
	s_add_co_i32 s4, s4, s2
	s_cmp_eq_u32 s18, 0
	s_cselect_b32 s17, s3, s4
	s_wait_kmcnt 0x0
	s_cmp_ge_u32 s17, s16
	s_cbranch_scc1 .LBB44_7
; %bb.1:
	s_clause 0x3
	s_load_b128 s[4:7], s[0:1], 0x8
	s_load_b128 s[8:11], s[0:1], 0x38
	;; [unrolled: 1-line block ×3, first 2 shown]
	s_load_b64 s[2:3], s[0:1], 0x48
	s_bfe_u32 s19, ttmp6, 0x4000c
	s_and_b32 s20, ttmp6, 15
	s_add_co_i32 s19, s19, 1
	v_mov_b32_e32 v1, 0
	s_mul_i32 s19, ttmp9, s19
	s_wait_xcnt 0x0
	s_add_nc_u64 s[0:1], s[0:1], 0x60
	s_add_co_i32 s20, s20, s19
	s_cmp_eq_u32 s18, 0
	s_cselect_b32 s18, ttmp9, s20
	s_wait_kmcnt 0x0
	v_cmp_neq_f64_e64 s19, s[6:7], 0
	s_lshl_b64 s[10:11], s[10:11], 3
	s_lshl_b64 s[14:15], s[14:15], 3
	s_branch .LBB44_4
.LBB44_2:                               ;   in Loop: Header=BB44_4 Depth=1
	s_wait_xcnt 0x0
	s_or_b32 exec_lo, exec_lo, s20
.LBB44_3:                               ;   in Loop: Header=BB44_4 Depth=1
	s_add_co_i32 s17, s17, 0x10000
	s_delay_alu instid0(SALU_CYCLE_1)
	s_cmp_lt_u32 s17, s16
	s_cbranch_scc0 .LBB44_7
.LBB44_4:                               ; =>This Inner Loop Header: Depth=1
	s_and_not1_b32 vcc_lo, exec_lo, s19
	s_cbranch_vccnz .LBB44_3
; %bb.5:                                ;   in Loop: Header=BB44_4 Depth=1
	s_load_b32 s20, s[0:1], 0xc
	s_wait_kmcnt 0x0
	s_and_b32 s20, s20, 0xffff
	s_delay_alu instid0(SALU_CYCLE_1) | instskip(SKIP_1) | instid1(VALU_DEP_1)
	v_mad_nc_u64_u32 v[2:3], s20, s18, v[0:1]
	s_mov_b32 s20, exec_lo
	v_cmpx_gt_u64_e64 s[4:5], v[2:3]
	s_cbranch_execz .LBB44_2
; %bb.6:                                ;   in Loop: Header=BB44_4 Depth=1
	v_lshlrev_b64_e32 v[4:5], 3, v[2:3]
	s_load_b64 s[22:23], s[12:13], s17 offset:0x0 scale_offset
	s_load_b64 s[24:25], s[8:9], s17 offset:0x0 scale_offset
	s_delay_alu instid0(VALU_DEP_1) | instskip(NEXT) | instid1(VALU_DEP_2)
	v_cvt_f64_u32_e32 v[6:7], v5
	v_or_b32_e32 v3, 1, v4
	s_delay_alu instid0(VALU_DEP_1) | instskip(SKIP_3) | instid1(VALU_DEP_3)
	v_cvt_f64_u32_e32 v[4:5], v3
	s_wait_kmcnt 0x0
	s_add_nc_u64 s[22:23], s[22:23], s[14:15]
	s_add_nc_u64 s[24:25], s[24:25], s[10:11]
	v_ldexp_f64 v[6:7], v[6:7], 32
	s_delay_alu instid0(VALU_DEP_1) | instskip(NEXT) | instid1(VALU_DEP_1)
	v_add_f64_e32 v[4:5], v[6:7], v[4:5]
	v_cmp_gt_f64_e32 vcc_lo, 0x10000000, v[4:5]
	v_cndmask_b32_e64 v3, 0, 0x100, vcc_lo
	s_delay_alu instid0(VALU_DEP_1) | instskip(SKIP_1) | instid1(VALU_DEP_2)
	v_ldexp_f64 v[4:5], v[4:5], v3
	v_cndmask_b32_e64 v3, 0, 0xffffff80, vcc_lo
	v_rsq_f64_e32 v[6:7], v[4:5]
	v_cmp_class_f64_e64 vcc_lo, v[4:5], 0x260
	s_delay_alu instid0(TRANS32_DEP_1) | instskip(SKIP_1) | instid1(VALU_DEP_1)
	v_mul_f64_e32 v[8:9], v[4:5], v[6:7]
	v_mul_f64_e32 v[6:7], 0.5, v[6:7]
	v_fma_f64 v[10:11], -v[6:7], v[8:9], 0.5
	s_delay_alu instid0(VALU_DEP_1) | instskip(SKIP_1) | instid1(VALU_DEP_2)
	v_fmac_f64_e32 v[8:9], v[8:9], v[10:11]
	v_fmac_f64_e32 v[6:7], v[6:7], v[10:11]
	v_fma_f64 v[10:11], -v[8:9], v[8:9], v[4:5]
	s_delay_alu instid0(VALU_DEP_1) | instskip(NEXT) | instid1(VALU_DEP_1)
	v_fmac_f64_e32 v[8:9], v[10:11], v[6:7]
	v_fma_f64 v[10:11], -v[8:9], v[8:9], v[4:5]
	s_delay_alu instid0(VALU_DEP_1) | instskip(NEXT) | instid1(VALU_DEP_1)
	v_fmac_f64_e32 v[8:9], v[10:11], v[6:7]
	v_ldexp_f64 v[6:7], v[8:9], v3
	s_delay_alu instid0(VALU_DEP_1) | instskip(NEXT) | instid1(VALU_DEP_1)
	v_dual_cndmask_b32 v5, v7, v5 :: v_dual_cndmask_b32 v4, v6, v4
	v_add_f64_e32 v[4:5], -1.0, v[4:5]
	s_delay_alu instid0(VALU_DEP_1) | instskip(NEXT) | instid1(VALU_DEP_1)
	v_mul_f64_e32 v[4:5], 0.5, v[4:5]
	v_cvt_i32_f64_e32 v4, v[4:5]
	s_delay_alu instid0(VALU_DEP_1) | instskip(NEXT) | instid1(VALU_DEP_1)
	v_mad_u32 v3, v4, v4, v4
	v_lshrrev_b32_e32 v5, 31, v3
	s_delay_alu instid0(VALU_DEP_1) | instskip(NEXT) | instid1(VALU_DEP_1)
	v_dual_add_nc_u32 v3, v3, v5 :: v_dual_ashrrev_i32 v5, 31, v4
	v_ashrrev_i32_e32 v3, 1, v3
	s_delay_alu instid0(VALU_DEP_2) | instskip(NEXT) | instid1(VALU_DEP_2)
	v_mul_u64_e32 v[6:7], s[2:3], v[4:5]
	v_sub_nc_u32_e32 v2, v2, v3
	flat_load_b64 v[8:9], v2, s[22:23] scale_offset
	v_ashrrev_i32_e32 v3, 31, v2
	v_lshl_add_u64 v[6:7], v[6:7], 3, s[24:25]
	s_wait_xcnt 0x0
	s_delay_alu instid0(VALU_DEP_1)
	v_lshl_add_u64 v[2:3], v[2:3], 3, v[6:7]
	flat_load_b64 v[6:7], v4, s[22:23] scale_offset
	flat_load_b64 v[10:11], v[2:3]
	s_wait_loadcnt_dscnt 0x202
	s_wait_xcnt 0x1
	v_mul_f64_e32 v[4:5], s[6:7], v[8:9]
	s_wait_loadcnt_dscnt 0x0
	s_delay_alu instid0(VALU_DEP_1)
	v_fmac_f64_e32 v[10:11], v[4:5], v[6:7]
	flat_store_b64 v[2:3], v[10:11]
	s_branch .LBB44_2
.LBB44_7:
	s_endpgm
	.section	.rodata,"a",@progbits
	.p2align	6, 0x0
	.amdhsa_kernel _ZL23rocblas_syr_kernel_inc1ILb1ELi1024EddPKPKdPKPdEvimT2_lT3_llT4_llli
		.amdhsa_group_segment_fixed_size 0
		.amdhsa_private_segment_fixed_size 0
		.amdhsa_kernarg_size 352
		.amdhsa_user_sgpr_count 2
		.amdhsa_user_sgpr_dispatch_ptr 0
		.amdhsa_user_sgpr_queue_ptr 0
		.amdhsa_user_sgpr_kernarg_segment_ptr 1
		.amdhsa_user_sgpr_dispatch_id 0
		.amdhsa_user_sgpr_kernarg_preload_length 0
		.amdhsa_user_sgpr_kernarg_preload_offset 0
		.amdhsa_user_sgpr_private_segment_size 0
		.amdhsa_wavefront_size32 1
		.amdhsa_uses_dynamic_stack 0
		.amdhsa_enable_private_segment 0
		.amdhsa_system_sgpr_workgroup_id_x 1
		.amdhsa_system_sgpr_workgroup_id_y 0
		.amdhsa_system_sgpr_workgroup_id_z 1
		.amdhsa_system_sgpr_workgroup_info 0
		.amdhsa_system_vgpr_workitem_id 0
		.amdhsa_next_free_vgpr 12
		.amdhsa_next_free_sgpr 26
		.amdhsa_named_barrier_count 0
		.amdhsa_reserve_vcc 1
		.amdhsa_float_round_mode_32 0
		.amdhsa_float_round_mode_16_64 0
		.amdhsa_float_denorm_mode_32 3
		.amdhsa_float_denorm_mode_16_64 3
		.amdhsa_fp16_overflow 0
		.amdhsa_memory_ordered 1
		.amdhsa_forward_progress 1
		.amdhsa_inst_pref_size 5
		.amdhsa_round_robin_scheduling 0
		.amdhsa_exception_fp_ieee_invalid_op 0
		.amdhsa_exception_fp_denorm_src 0
		.amdhsa_exception_fp_ieee_div_zero 0
		.amdhsa_exception_fp_ieee_overflow 0
		.amdhsa_exception_fp_ieee_underflow 0
		.amdhsa_exception_fp_ieee_inexact 0
		.amdhsa_exception_int_div_zero 0
	.end_amdhsa_kernel
	.section	.text._ZL23rocblas_syr_kernel_inc1ILb1ELi1024EddPKPKdPKPdEvimT2_lT3_llT4_llli,"axG",@progbits,_ZL23rocblas_syr_kernel_inc1ILb1ELi1024EddPKPKdPKPdEvimT2_lT3_llT4_llli,comdat
.Lfunc_end44:
	.size	_ZL23rocblas_syr_kernel_inc1ILb1ELi1024EddPKPKdPKPdEvimT2_lT3_llT4_llli, .Lfunc_end44-_ZL23rocblas_syr_kernel_inc1ILb1ELi1024EddPKPKdPKPdEvimT2_lT3_llT4_llli
                                        ; -- End function
	.set _ZL23rocblas_syr_kernel_inc1ILb1ELi1024EddPKPKdPKPdEvimT2_lT3_llT4_llli.num_vgpr, 12
	.set _ZL23rocblas_syr_kernel_inc1ILb1ELi1024EddPKPKdPKPdEvimT2_lT3_llT4_llli.num_agpr, 0
	.set _ZL23rocblas_syr_kernel_inc1ILb1ELi1024EddPKPKdPKPdEvimT2_lT3_llT4_llli.numbered_sgpr, 26
	.set _ZL23rocblas_syr_kernel_inc1ILb1ELi1024EddPKPKdPKPdEvimT2_lT3_llT4_llli.num_named_barrier, 0
	.set _ZL23rocblas_syr_kernel_inc1ILb1ELi1024EddPKPKdPKPdEvimT2_lT3_llT4_llli.private_seg_size, 0
	.set _ZL23rocblas_syr_kernel_inc1ILb1ELi1024EddPKPKdPKPdEvimT2_lT3_llT4_llli.uses_vcc, 1
	.set _ZL23rocblas_syr_kernel_inc1ILb1ELi1024EddPKPKdPKPdEvimT2_lT3_llT4_llli.uses_flat_scratch, 0
	.set _ZL23rocblas_syr_kernel_inc1ILb1ELi1024EddPKPKdPKPdEvimT2_lT3_llT4_llli.has_dyn_sized_stack, 0
	.set _ZL23rocblas_syr_kernel_inc1ILb1ELi1024EddPKPKdPKPdEvimT2_lT3_llT4_llli.has_recursion, 0
	.set _ZL23rocblas_syr_kernel_inc1ILb1ELi1024EddPKPKdPKPdEvimT2_lT3_llT4_llli.has_indirect_call, 0
	.section	.AMDGPU.csdata,"",@progbits
; Kernel info:
; codeLenInByte = 640
; TotalNumSgprs: 28
; NumVgprs: 12
; ScratchSize: 0
; MemoryBound: 0
; FloatMode: 240
; IeeeMode: 1
; LDSByteSize: 0 bytes/workgroup (compile time only)
; SGPRBlocks: 0
; VGPRBlocks: 0
; NumSGPRsForWavesPerEU: 28
; NumVGPRsForWavesPerEU: 12
; NamedBarCnt: 0
; Occupancy: 16
; WaveLimiterHint : 1
; COMPUTE_PGM_RSRC2:SCRATCH_EN: 0
; COMPUTE_PGM_RSRC2:USER_SGPR: 2
; COMPUTE_PGM_RSRC2:TRAP_HANDLER: 0
; COMPUTE_PGM_RSRC2:TGID_X_EN: 1
; COMPUTE_PGM_RSRC2:TGID_Y_EN: 0
; COMPUTE_PGM_RSRC2:TGID_Z_EN: 1
; COMPUTE_PGM_RSRC2:TIDIG_COMP_CNT: 0
	.section	.text._ZL18rocblas_syr_kernelILb1ELi1024EddPKPKdPKPdEvimT2_lT3_lllT4_llli,"axG",@progbits,_ZL18rocblas_syr_kernelILb1ELi1024EddPKPKdPKPdEvimT2_lT3_lllT4_llli,comdat
	.globl	_ZL18rocblas_syr_kernelILb1ELi1024EddPKPKdPKPdEvimT2_lT3_lllT4_llli ; -- Begin function _ZL18rocblas_syr_kernelILb1ELi1024EddPKPKdPKPdEvimT2_lT3_lllT4_llli
	.p2align	8
	.type	_ZL18rocblas_syr_kernelILb1ELi1024EddPKPKdPKPdEvimT2_lT3_lllT4_llli,@function
_ZL18rocblas_syr_kernelILb1ELi1024EddPKPKdPKPdEvimT2_lT3_lllT4_llli: ; @_ZL18rocblas_syr_kernelILb1ELi1024EddPKPKdPKPdEvimT2_lT3_lllT4_llli
; %bb.0:
	s_load_b32 s18, s[0:1], 0x60
	s_bfe_u32 s2, ttmp6, 0x40014
	s_lshr_b32 s3, ttmp7, 16
	s_add_co_i32 s2, s2, 1
	s_bfe_u32 s4, ttmp6, 0x40008
	s_mul_i32 s2, s3, s2
	s_getreg_b32 s20, hwreg(HW_REG_IB_STS2, 6, 4)
	s_add_co_i32 s4, s4, s2
	s_cmp_eq_u32 s20, 0
	s_cselect_b32 s19, s3, s4
	s_wait_kmcnt 0x0
	s_cmp_ge_u32 s19, s18
	s_cbranch_scc1 .LBB45_7
; %bb.1:
	s_clause 0x4
	s_load_b128 s[4:7], s[0:1], 0x8
	s_load_b128 s[8:11], s[0:1], 0x40
	;; [unrolled: 1-line block ×3, first 2 shown]
	s_load_b64 s[2:3], s[0:1], 0x30
	s_load_b64 s[16:17], s[0:1], 0x50
	s_bfe_u32 s21, ttmp6, 0x4000c
	s_and_b32 s22, ttmp6, 15
	s_add_co_i32 s21, s21, 1
	v_mov_b32_e32 v1, 0
	s_mul_i32 s21, ttmp9, s21
	s_wait_xcnt 0x0
	s_add_nc_u64 s[0:1], s[0:1], 0x68
	s_add_co_i32 s22, s22, s21
	s_cmp_eq_u32 s20, 0
	s_cselect_b32 s20, ttmp9, s22
	s_wait_kmcnt 0x0
	v_cmp_neq_f64_e64 s21, s[6:7], 0
	s_lshl_b64 s[10:11], s[10:11], 3
	s_lshl_b64 s[14:15], s[14:15], 3
	s_branch .LBB45_4
.LBB45_2:                               ;   in Loop: Header=BB45_4 Depth=1
	s_wait_xcnt 0x0
	s_or_b32 exec_lo, exec_lo, s22
.LBB45_3:                               ;   in Loop: Header=BB45_4 Depth=1
	s_add_co_i32 s19, s19, 0x10000
	s_delay_alu instid0(SALU_CYCLE_1)
	s_cmp_lt_u32 s19, s18
	s_cbranch_scc0 .LBB45_7
.LBB45_4:                               ; =>This Inner Loop Header: Depth=1
	s_and_not1_b32 vcc_lo, exec_lo, s21
	s_cbranch_vccnz .LBB45_3
; %bb.5:                                ;   in Loop: Header=BB45_4 Depth=1
	s_load_b32 s22, s[0:1], 0xc
	s_wait_kmcnt 0x0
	s_and_b32 s22, s22, 0xffff
	s_delay_alu instid0(SALU_CYCLE_1) | instskip(SKIP_1) | instid1(VALU_DEP_1)
	v_mad_nc_u64_u32 v[2:3], s22, s20, v[0:1]
	s_mov_b32 s22, exec_lo
	v_cmpx_gt_u64_e64 s[4:5], v[2:3]
	s_cbranch_execz .LBB45_2
; %bb.6:                                ;   in Loop: Header=BB45_4 Depth=1
	v_lshlrev_b64_e32 v[4:5], 3, v[2:3]
	s_load_b64 s[24:25], s[12:13], s19 offset:0x0 scale_offset
	s_load_b64 s[26:27], s[8:9], s19 offset:0x0 scale_offset
	s_delay_alu instid0(VALU_DEP_1) | instskip(NEXT) | instid1(VALU_DEP_2)
	v_cvt_f64_u32_e32 v[6:7], v5
	v_or_b32_e32 v3, 1, v4
	s_delay_alu instid0(VALU_DEP_1) | instskip(SKIP_3) | instid1(VALU_DEP_3)
	v_cvt_f64_u32_e32 v[4:5], v3
	s_wait_kmcnt 0x0
	s_add_nc_u64 s[24:25], s[24:25], s[14:15]
	s_add_nc_u64 s[26:27], s[26:27], s[10:11]
	v_ldexp_f64 v[6:7], v[6:7], 32
	s_delay_alu instid0(VALU_DEP_1) | instskip(NEXT) | instid1(VALU_DEP_1)
	v_add_f64_e32 v[4:5], v[6:7], v[4:5]
	v_cmp_gt_f64_e32 vcc_lo, 0x10000000, v[4:5]
	v_cndmask_b32_e64 v3, 0, 0x100, vcc_lo
	s_delay_alu instid0(VALU_DEP_1) | instskip(SKIP_1) | instid1(VALU_DEP_2)
	v_ldexp_f64 v[4:5], v[4:5], v3
	v_cndmask_b32_e64 v3, 0, 0xffffff80, vcc_lo
	v_rsq_f64_e32 v[6:7], v[4:5]
	v_cmp_class_f64_e64 vcc_lo, v[4:5], 0x260
	s_delay_alu instid0(TRANS32_DEP_1) | instskip(SKIP_1) | instid1(VALU_DEP_1)
	v_mul_f64_e32 v[8:9], v[4:5], v[6:7]
	v_mul_f64_e32 v[6:7], 0.5, v[6:7]
	v_fma_f64 v[10:11], -v[6:7], v[8:9], 0.5
	s_delay_alu instid0(VALU_DEP_1) | instskip(SKIP_1) | instid1(VALU_DEP_2)
	v_fmac_f64_e32 v[8:9], v[8:9], v[10:11]
	v_fmac_f64_e32 v[6:7], v[6:7], v[10:11]
	v_fma_f64 v[10:11], -v[8:9], v[8:9], v[4:5]
	s_delay_alu instid0(VALU_DEP_1) | instskip(NEXT) | instid1(VALU_DEP_1)
	v_fmac_f64_e32 v[8:9], v[10:11], v[6:7]
	v_fma_f64 v[10:11], -v[8:9], v[8:9], v[4:5]
	s_delay_alu instid0(VALU_DEP_1) | instskip(NEXT) | instid1(VALU_DEP_1)
	v_fmac_f64_e32 v[8:9], v[10:11], v[6:7]
	v_ldexp_f64 v[6:7], v[8:9], v3
	s_delay_alu instid0(VALU_DEP_1) | instskip(NEXT) | instid1(VALU_DEP_1)
	v_dual_cndmask_b32 v5, v7, v5 :: v_dual_cndmask_b32 v4, v6, v4
	v_add_f64_e32 v[4:5], -1.0, v[4:5]
	s_delay_alu instid0(VALU_DEP_1) | instskip(NEXT) | instid1(VALU_DEP_1)
	v_mul_f64_e32 v[4:5], 0.5, v[4:5]
	v_cvt_i32_f64_e32 v4, v[4:5]
	s_delay_alu instid0(VALU_DEP_1) | instskip(NEXT) | instid1(VALU_DEP_1)
	v_mad_u32 v3, v4, v4, v4
	v_lshrrev_b32_e32 v5, 31, v3
	s_delay_alu instid0(VALU_DEP_1) | instskip(NEXT) | instid1(VALU_DEP_1)
	v_dual_add_nc_u32 v3, v3, v5 :: v_dual_ashrrev_i32 v5, 31, v4
	v_ashrrev_i32_e32 v3, 1, v3
	s_delay_alu instid0(VALU_DEP_2) | instskip(SKIP_1) | instid1(VALU_DEP_3)
	v_mul_u64_e32 v[8:9], s[16:17], v[4:5]
	v_mul_u64_e32 v[4:5], s[2:3], v[4:5]
	v_sub_nc_u32_e32 v2, v2, v3
	s_delay_alu instid0(VALU_DEP_1) | instskip(NEXT) | instid1(VALU_DEP_1)
	v_ashrrev_i32_e32 v3, 31, v2
	v_mul_u64_e32 v[6:7], s[2:3], v[2:3]
	v_lshl_add_u64 v[8:9], v[8:9], 3, s[26:27]
	v_lshl_add_u64 v[4:5], v[4:5], 3, s[24:25]
	s_delay_alu instid0(VALU_DEP_2) | instskip(NEXT) | instid1(VALU_DEP_4)
	v_lshl_add_u64 v[2:3], v[2:3], 3, v[8:9]
	v_lshl_add_u64 v[6:7], v[6:7], 3, s[24:25]
	s_clause 0x1
	flat_load_b64 v[6:7], v[6:7]
	flat_load_b64 v[8:9], v[4:5]
	;; [unrolled: 1-line block ×3, first 2 shown]
	s_wait_loadcnt_dscnt 0x202
	s_wait_xcnt 0x1
	v_mul_f64_e32 v[4:5], s[6:7], v[6:7]
	s_wait_loadcnt_dscnt 0x0
	s_delay_alu instid0(VALU_DEP_1)
	v_fmac_f64_e32 v[10:11], v[4:5], v[8:9]
	flat_store_b64 v[2:3], v[10:11]
	s_branch .LBB45_2
.LBB45_7:
	s_endpgm
	.section	.rodata,"a",@progbits
	.p2align	6, 0x0
	.amdhsa_kernel _ZL18rocblas_syr_kernelILb1ELi1024EddPKPKdPKPdEvimT2_lT3_lllT4_llli
		.amdhsa_group_segment_fixed_size 0
		.amdhsa_private_segment_fixed_size 0
		.amdhsa_kernarg_size 360
		.amdhsa_user_sgpr_count 2
		.amdhsa_user_sgpr_dispatch_ptr 0
		.amdhsa_user_sgpr_queue_ptr 0
		.amdhsa_user_sgpr_kernarg_segment_ptr 1
		.amdhsa_user_sgpr_dispatch_id 0
		.amdhsa_user_sgpr_kernarg_preload_length 0
		.amdhsa_user_sgpr_kernarg_preload_offset 0
		.amdhsa_user_sgpr_private_segment_size 0
		.amdhsa_wavefront_size32 1
		.amdhsa_uses_dynamic_stack 0
		.amdhsa_enable_private_segment 0
		.amdhsa_system_sgpr_workgroup_id_x 1
		.amdhsa_system_sgpr_workgroup_id_y 0
		.amdhsa_system_sgpr_workgroup_id_z 1
		.amdhsa_system_sgpr_workgroup_info 0
		.amdhsa_system_vgpr_workitem_id 0
		.amdhsa_next_free_vgpr 12
		.amdhsa_next_free_sgpr 28
		.amdhsa_named_barrier_count 0
		.amdhsa_reserve_vcc 1
		.amdhsa_float_round_mode_32 0
		.amdhsa_float_round_mode_16_64 0
		.amdhsa_float_denorm_mode_32 3
		.amdhsa_float_denorm_mode_16_64 3
		.amdhsa_fp16_overflow 0
		.amdhsa_memory_ordered 1
		.amdhsa_forward_progress 1
		.amdhsa_inst_pref_size 6
		.amdhsa_round_robin_scheduling 0
		.amdhsa_exception_fp_ieee_invalid_op 0
		.amdhsa_exception_fp_denorm_src 0
		.amdhsa_exception_fp_ieee_div_zero 0
		.amdhsa_exception_fp_ieee_overflow 0
		.amdhsa_exception_fp_ieee_underflow 0
		.amdhsa_exception_fp_ieee_inexact 0
		.amdhsa_exception_int_div_zero 0
	.end_amdhsa_kernel
	.section	.text._ZL18rocblas_syr_kernelILb1ELi1024EddPKPKdPKPdEvimT2_lT3_lllT4_llli,"axG",@progbits,_ZL18rocblas_syr_kernelILb1ELi1024EddPKPKdPKPdEvimT2_lT3_lllT4_llli,comdat
.Lfunc_end45:
	.size	_ZL18rocblas_syr_kernelILb1ELi1024EddPKPKdPKPdEvimT2_lT3_lllT4_llli, .Lfunc_end45-_ZL18rocblas_syr_kernelILb1ELi1024EddPKPKdPKPdEvimT2_lT3_lllT4_llli
                                        ; -- End function
	.set _ZL18rocblas_syr_kernelILb1ELi1024EddPKPKdPKPdEvimT2_lT3_lllT4_llli.num_vgpr, 12
	.set _ZL18rocblas_syr_kernelILb1ELi1024EddPKPKdPKPdEvimT2_lT3_lllT4_llli.num_agpr, 0
	.set _ZL18rocblas_syr_kernelILb1ELi1024EddPKPKdPKPdEvimT2_lT3_lllT4_llli.numbered_sgpr, 28
	.set _ZL18rocblas_syr_kernelILb1ELi1024EddPKPKdPKPdEvimT2_lT3_lllT4_llli.num_named_barrier, 0
	.set _ZL18rocblas_syr_kernelILb1ELi1024EddPKPKdPKPdEvimT2_lT3_lllT4_llli.private_seg_size, 0
	.set _ZL18rocblas_syr_kernelILb1ELi1024EddPKPKdPKPdEvimT2_lT3_lllT4_llli.uses_vcc, 1
	.set _ZL18rocblas_syr_kernelILb1ELi1024EddPKPKdPKPdEvimT2_lT3_lllT4_llli.uses_flat_scratch, 1
	.set _ZL18rocblas_syr_kernelILb1ELi1024EddPKPKdPKPdEvimT2_lT3_lllT4_llli.has_dyn_sized_stack, 0
	.set _ZL18rocblas_syr_kernelILb1ELi1024EddPKPKdPKPdEvimT2_lT3_lllT4_llli.has_recursion, 0
	.set _ZL18rocblas_syr_kernelILb1ELi1024EddPKPKdPKPdEvimT2_lT3_lllT4_llli.has_indirect_call, 0
	.section	.AMDGPU.csdata,"",@progbits
; Kernel info:
; codeLenInByte = 676
; TotalNumSgprs: 30
; NumVgprs: 12
; ScratchSize: 0
; MemoryBound: 0
; FloatMode: 240
; IeeeMode: 1
; LDSByteSize: 0 bytes/workgroup (compile time only)
; SGPRBlocks: 0
; VGPRBlocks: 0
; NumSGPRsForWavesPerEU: 30
; NumVGPRsForWavesPerEU: 12
; NamedBarCnt: 0
; Occupancy: 16
; WaveLimiterHint : 1
; COMPUTE_PGM_RSRC2:SCRATCH_EN: 0
; COMPUTE_PGM_RSRC2:USER_SGPR: 2
; COMPUTE_PGM_RSRC2:TRAP_HANDLER: 0
; COMPUTE_PGM_RSRC2:TGID_X_EN: 1
; COMPUTE_PGM_RSRC2:TGID_Y_EN: 0
; COMPUTE_PGM_RSRC2:TGID_Z_EN: 1
; COMPUTE_PGM_RSRC2:TIDIG_COMP_CNT: 0
	.section	.text._ZL23rocblas_syr_kernel_inc1ILb0ELi1024EddPKPKdPKPdEvimT2_lT3_llT4_llli,"axG",@progbits,_ZL23rocblas_syr_kernel_inc1ILb0ELi1024EddPKPKdPKPdEvimT2_lT3_llT4_llli,comdat
	.globl	_ZL23rocblas_syr_kernel_inc1ILb0ELi1024EddPKPKdPKPdEvimT2_lT3_llT4_llli ; -- Begin function _ZL23rocblas_syr_kernel_inc1ILb0ELi1024EddPKPKdPKPdEvimT2_lT3_llT4_llli
	.p2align	8
	.type	_ZL23rocblas_syr_kernel_inc1ILb0ELi1024EddPKPKdPKPdEvimT2_lT3_llT4_llli,@function
_ZL23rocblas_syr_kernel_inc1ILb0ELi1024EddPKPKdPKPdEvimT2_lT3_llT4_llli: ; @_ZL23rocblas_syr_kernel_inc1ILb0ELi1024EddPKPKdPKPdEvimT2_lT3_llT4_llli
; %bb.0:
	s_load_b32 s18, s[0:1], 0x58
	s_bfe_u32 s2, ttmp6, 0x40014
	s_lshr_b32 s3, ttmp7, 16
	s_add_co_i32 s2, s2, 1
	s_bfe_u32 s4, ttmp6, 0x40008
	s_mul_i32 s2, s3, s2
	s_getreg_b32 s20, hwreg(HW_REG_IB_STS2, 6, 4)
	s_add_co_i32 s4, s4, s2
	s_cmp_eq_u32 s20, 0
	s_cselect_b32 s19, s3, s4
	s_wait_kmcnt 0x0
	s_cmp_ge_u32 s19, s18
	s_cbranch_scc1 .LBB46_7
; %bb.1:
	s_clause 0x4
	s_load_b32 s2, s[0:1], 0x0
	s_load_b128 s[4:7], s[0:1], 0x8
	s_load_b128 s[8:11], s[0:1], 0x38
	;; [unrolled: 1-line block ×3, first 2 shown]
	s_load_b64 s[16:17], s[0:1], 0x48
	s_bfe_u32 s3, ttmp6, 0x4000c
	s_and_b32 s21, ttmp6, 15
	s_add_co_i32 s3, s3, 1
	v_mov_b32_e32 v1, 0
	s_mul_i32 s3, ttmp9, s3
	s_wait_xcnt 0x0
	s_add_nc_u64 s[0:1], s[0:1], 0x60
	s_add_co_i32 s21, s21, s3
	s_wait_kmcnt 0x0
	s_ashr_i32 s3, s2, 31
	s_cmp_eq_u32 s20, 0
	v_cmp_neq_f64_e64 s20, s[6:7], 0
	s_cselect_b32 s21, ttmp9, s21
	s_add_co_i32 s22, s2, -1
	s_lshl_b64 s[10:11], s[10:11], 3
	s_lshl_b64 s[14:15], s[14:15], 3
	s_branch .LBB46_4
.LBB46_2:                               ;   in Loop: Header=BB46_4 Depth=1
	s_wait_xcnt 0x0
	s_or_b32 exec_lo, exec_lo, s23
.LBB46_3:                               ;   in Loop: Header=BB46_4 Depth=1
	s_add_co_i32 s19, s19, 0x10000
	s_delay_alu instid0(SALU_CYCLE_1)
	s_cmp_lt_u32 s19, s18
	s_cbranch_scc0 .LBB46_7
.LBB46_4:                               ; =>This Inner Loop Header: Depth=1
	s_and_not1_b32 vcc_lo, exec_lo, s20
	s_cbranch_vccnz .LBB46_3
; %bb.5:                                ;   in Loop: Header=BB46_4 Depth=1
	s_load_b32 s23, s[0:1], 0xc
	s_wait_kmcnt 0x0
	s_and_b32 s23, s23, 0xffff
	s_delay_alu instid0(SALU_CYCLE_1) | instskip(SKIP_1) | instid1(VALU_DEP_1)
	v_mad_nc_u64_u32 v[2:3], s23, s21, v[0:1]
	s_mov_b32 s23, exec_lo
	v_cmpx_gt_u64_e64 s[4:5], v[2:3]
	s_cbranch_execz .LBB46_2
; %bb.6:                                ;   in Loop: Header=BB46_4 Depth=1
	v_not_b32_e32 v3, v3
	v_not_b32_e32 v2, v2
	s_load_b64 s[24:25], s[12:13], s19 offset:0x0 scale_offset
	s_load_b64 s[26:27], s[8:9], s19 offset:0x0 scale_offset
	s_delay_alu instid0(VALU_DEP_1) | instskip(NEXT) | instid1(VALU_DEP_1)
	v_add_nc_u64_e32 v[2:3], s[4:5], v[2:3]
	v_lshlrev_b64_e32 v[4:5], 3, v[2:3]
	s_delay_alu instid0(VALU_DEP_1) | instskip(NEXT) | instid1(VALU_DEP_2)
	v_cvt_f64_u32_e32 v[6:7], v5
	v_or_b32_e32 v3, 1, v4
	s_wait_kmcnt 0x0
	s_add_nc_u64 s[24:25], s[24:25], s[14:15]
	s_add_nc_u64 s[26:27], s[26:27], s[10:11]
	s_delay_alu instid0(VALU_DEP_1) | instskip(NEXT) | instid1(VALU_DEP_3)
	v_cvt_f64_u32_e32 v[4:5], v3
	v_ldexp_f64 v[6:7], v[6:7], 32
	s_delay_alu instid0(VALU_DEP_1) | instskip(NEXT) | instid1(VALU_DEP_1)
	v_add_f64_e32 v[4:5], v[6:7], v[4:5]
	v_cmp_gt_f64_e32 vcc_lo, 0x10000000, v[4:5]
	v_cndmask_b32_e64 v3, 0, 0x100, vcc_lo
	s_delay_alu instid0(VALU_DEP_1) | instskip(SKIP_1) | instid1(VALU_DEP_2)
	v_ldexp_f64 v[4:5], v[4:5], v3
	v_cndmask_b32_e64 v3, 0, 0xffffff80, vcc_lo
	v_rsq_f64_e32 v[6:7], v[4:5]
	v_cmp_class_f64_e64 vcc_lo, v[4:5], 0x260
	s_delay_alu instid0(TRANS32_DEP_1) | instskip(SKIP_1) | instid1(VALU_DEP_1)
	v_mul_f64_e32 v[8:9], v[4:5], v[6:7]
	v_mul_f64_e32 v[6:7], 0.5, v[6:7]
	v_fma_f64 v[10:11], -v[6:7], v[8:9], 0.5
	s_delay_alu instid0(VALU_DEP_1) | instskip(SKIP_1) | instid1(VALU_DEP_2)
	v_fmac_f64_e32 v[8:9], v[8:9], v[10:11]
	v_fmac_f64_e32 v[6:7], v[6:7], v[10:11]
	v_fma_f64 v[10:11], -v[8:9], v[8:9], v[4:5]
	s_delay_alu instid0(VALU_DEP_1) | instskip(NEXT) | instid1(VALU_DEP_1)
	v_fmac_f64_e32 v[8:9], v[10:11], v[6:7]
	v_fma_f64 v[10:11], -v[8:9], v[8:9], v[4:5]
	s_delay_alu instid0(VALU_DEP_1) | instskip(NEXT) | instid1(VALU_DEP_1)
	v_fmac_f64_e32 v[8:9], v[10:11], v[6:7]
	v_ldexp_f64 v[6:7], v[8:9], v3
	s_delay_alu instid0(VALU_DEP_1) | instskip(NEXT) | instid1(VALU_DEP_1)
	v_dual_cndmask_b32 v5, v7, v5 :: v_dual_cndmask_b32 v4, v6, v4
	v_add_f64_e32 v[4:5], -1.0, v[4:5]
	s_delay_alu instid0(VALU_DEP_1) | instskip(NEXT) | instid1(VALU_DEP_1)
	v_mul_f64_e32 v[4:5], 0.5, v[4:5]
	v_cvt_i32_f64_e32 v4, v[4:5]
	s_delay_alu instid0(VALU_DEP_1) | instskip(SKIP_1) | instid1(VALU_DEP_1)
	v_mad_u32 v3, v4, v4, v4
	v_sub_nc_u32_e32 v6, s22, v4
	v_dual_ashrrev_i32 v7, 31, v6 :: v_dual_lshrrev_b32 v5, 31, v3
	s_delay_alu instid0(VALU_DEP_1) | instskip(NEXT) | instid1(VALU_DEP_1)
	v_dual_add_nc_u32 v3, v3, v5 :: v_dual_sub_nc_u32 v5, s22, v2
	v_ashrrev_i32_e32 v8, 1, v3
	s_delay_alu instid0(VALU_DEP_3) | instskip(NEXT) | instid1(VALU_DEP_2)
	v_mul_u64_e32 v[2:3], s[16:17], v[6:7]
	v_add_nc_u32_e32 v6, v5, v8
	v_ashrrev_i32_e32 v5, 31, v4
	flat_load_b64 v[8:9], v6, s[24:25] scale_offset
	v_sub_nc_u64_e32 v[4:5], s[2:3], v[4:5]
	v_ashrrev_i32_e32 v7, 31, v6
	s_delay_alu instid0(VALU_DEP_2) | instskip(SKIP_1) | instid1(VALU_DEP_1)
	v_lshl_add_u64 v[4:5], v[4:5], 3, s[24:25]
	v_lshl_add_u64 v[2:3], v[2:3], 3, s[26:27]
	;; [unrolled: 1-line block ×3, first 2 shown]
	flat_load_b64 v[6:7], v[4:5] offset:-8
	flat_load_b64 v[10:11], v[2:3]
	s_wait_loadcnt_dscnt 0x202
	s_wait_xcnt 0x1
	v_mul_f64_e32 v[4:5], s[6:7], v[8:9]
	s_wait_loadcnt_dscnt 0x0
	s_delay_alu instid0(VALU_DEP_1)
	v_fmac_f64_e32 v[10:11], v[4:5], v[6:7]
	flat_store_b64 v[2:3], v[10:11]
	s_branch .LBB46_2
.LBB46_7:
	s_endpgm
	.section	.rodata,"a",@progbits
	.p2align	6, 0x0
	.amdhsa_kernel _ZL23rocblas_syr_kernel_inc1ILb0ELi1024EddPKPKdPKPdEvimT2_lT3_llT4_llli
		.amdhsa_group_segment_fixed_size 0
		.amdhsa_private_segment_fixed_size 0
		.amdhsa_kernarg_size 352
		.amdhsa_user_sgpr_count 2
		.amdhsa_user_sgpr_dispatch_ptr 0
		.amdhsa_user_sgpr_queue_ptr 0
		.amdhsa_user_sgpr_kernarg_segment_ptr 1
		.amdhsa_user_sgpr_dispatch_id 0
		.amdhsa_user_sgpr_kernarg_preload_length 0
		.amdhsa_user_sgpr_kernarg_preload_offset 0
		.amdhsa_user_sgpr_private_segment_size 0
		.amdhsa_wavefront_size32 1
		.amdhsa_uses_dynamic_stack 0
		.amdhsa_enable_private_segment 0
		.amdhsa_system_sgpr_workgroup_id_x 1
		.amdhsa_system_sgpr_workgroup_id_y 0
		.amdhsa_system_sgpr_workgroup_id_z 1
		.amdhsa_system_sgpr_workgroup_info 0
		.amdhsa_system_vgpr_workitem_id 0
		.amdhsa_next_free_vgpr 12
		.amdhsa_next_free_sgpr 28
		.amdhsa_named_barrier_count 0
		.amdhsa_reserve_vcc 1
		.amdhsa_float_round_mode_32 0
		.amdhsa_float_round_mode_16_64 0
		.amdhsa_float_denorm_mode_32 3
		.amdhsa_float_denorm_mode_16_64 3
		.amdhsa_fp16_overflow 0
		.amdhsa_memory_ordered 1
		.amdhsa_forward_progress 1
		.amdhsa_inst_pref_size 6
		.amdhsa_round_robin_scheduling 0
		.amdhsa_exception_fp_ieee_invalid_op 0
		.amdhsa_exception_fp_denorm_src 0
		.amdhsa_exception_fp_ieee_div_zero 0
		.amdhsa_exception_fp_ieee_overflow 0
		.amdhsa_exception_fp_ieee_underflow 0
		.amdhsa_exception_fp_ieee_inexact 0
		.amdhsa_exception_int_div_zero 0
	.end_amdhsa_kernel
	.section	.text._ZL23rocblas_syr_kernel_inc1ILb0ELi1024EddPKPKdPKPdEvimT2_lT3_llT4_llli,"axG",@progbits,_ZL23rocblas_syr_kernel_inc1ILb0ELi1024EddPKPKdPKPdEvimT2_lT3_llT4_llli,comdat
.Lfunc_end46:
	.size	_ZL23rocblas_syr_kernel_inc1ILb0ELi1024EddPKPKdPKPdEvimT2_lT3_llT4_llli, .Lfunc_end46-_ZL23rocblas_syr_kernel_inc1ILb0ELi1024EddPKPKdPKPdEvimT2_lT3_llT4_llli
                                        ; -- End function
	.set _ZL23rocblas_syr_kernel_inc1ILb0ELi1024EddPKPKdPKPdEvimT2_lT3_llT4_llli.num_vgpr, 12
	.set _ZL23rocblas_syr_kernel_inc1ILb0ELi1024EddPKPKdPKPdEvimT2_lT3_llT4_llli.num_agpr, 0
	.set _ZL23rocblas_syr_kernel_inc1ILb0ELi1024EddPKPKdPKPdEvimT2_lT3_llT4_llli.numbered_sgpr, 28
	.set _ZL23rocblas_syr_kernel_inc1ILb0ELi1024EddPKPKdPKPdEvimT2_lT3_llT4_llli.num_named_barrier, 0
	.set _ZL23rocblas_syr_kernel_inc1ILb0ELi1024EddPKPKdPKPdEvimT2_lT3_llT4_llli.private_seg_size, 0
	.set _ZL23rocblas_syr_kernel_inc1ILb0ELi1024EddPKPKdPKPdEvimT2_lT3_llT4_llli.uses_vcc, 1
	.set _ZL23rocblas_syr_kernel_inc1ILb0ELi1024EddPKPKdPKPdEvimT2_lT3_llT4_llli.uses_flat_scratch, 0
	.set _ZL23rocblas_syr_kernel_inc1ILb0ELi1024EddPKPKdPKPdEvimT2_lT3_llT4_llli.has_dyn_sized_stack, 0
	.set _ZL23rocblas_syr_kernel_inc1ILb0ELi1024EddPKPKdPKPdEvimT2_lT3_llT4_llli.has_recursion, 0
	.set _ZL23rocblas_syr_kernel_inc1ILb0ELi1024EddPKPKdPKPdEvimT2_lT3_llT4_llli.has_indirect_call, 0
	.section	.AMDGPU.csdata,"",@progbits
; Kernel info:
; codeLenInByte = 696
; TotalNumSgprs: 30
; NumVgprs: 12
; ScratchSize: 0
; MemoryBound: 0
; FloatMode: 240
; IeeeMode: 1
; LDSByteSize: 0 bytes/workgroup (compile time only)
; SGPRBlocks: 0
; VGPRBlocks: 0
; NumSGPRsForWavesPerEU: 30
; NumVGPRsForWavesPerEU: 12
; NamedBarCnt: 0
; Occupancy: 16
; WaveLimiterHint : 1
; COMPUTE_PGM_RSRC2:SCRATCH_EN: 0
; COMPUTE_PGM_RSRC2:USER_SGPR: 2
; COMPUTE_PGM_RSRC2:TRAP_HANDLER: 0
; COMPUTE_PGM_RSRC2:TGID_X_EN: 1
; COMPUTE_PGM_RSRC2:TGID_Y_EN: 0
; COMPUTE_PGM_RSRC2:TGID_Z_EN: 1
; COMPUTE_PGM_RSRC2:TIDIG_COMP_CNT: 0
	.section	.text._ZL18rocblas_syr_kernelILb0ELi1024EddPKPKdPKPdEvimT2_lT3_lllT4_llli,"axG",@progbits,_ZL18rocblas_syr_kernelILb0ELi1024EddPKPKdPKPdEvimT2_lT3_lllT4_llli,comdat
	.globl	_ZL18rocblas_syr_kernelILb0ELi1024EddPKPKdPKPdEvimT2_lT3_lllT4_llli ; -- Begin function _ZL18rocblas_syr_kernelILb0ELi1024EddPKPKdPKPdEvimT2_lT3_lllT4_llli
	.p2align	8
	.type	_ZL18rocblas_syr_kernelILb0ELi1024EddPKPKdPKPdEvimT2_lT3_lllT4_llli,@function
_ZL18rocblas_syr_kernelILb0ELi1024EddPKPKdPKPdEvimT2_lT3_lllT4_llli: ; @_ZL18rocblas_syr_kernelILb0ELi1024EddPKPKdPKPdEvimT2_lT3_lllT4_llli
; %bb.0:
	s_load_b32 s18, s[0:1], 0x60
	s_bfe_u32 s2, ttmp6, 0x40014
	s_lshr_b32 s3, ttmp7, 16
	s_add_co_i32 s2, s2, 1
	s_bfe_u32 s4, ttmp6, 0x40008
	s_mul_i32 s2, s3, s2
	s_getreg_b32 s20, hwreg(HW_REG_IB_STS2, 6, 4)
	s_add_co_i32 s4, s4, s2
	s_cmp_eq_u32 s20, 0
	s_cselect_b32 s19, s3, s4
	s_wait_kmcnt 0x0
	s_cmp_ge_u32 s19, s18
	s_cbranch_scc1 .LBB47_7
; %bb.1:
	s_clause 0x5
	s_load_b128 s[4:7], s[0:1], 0x8
	s_load_b32 s22, s[0:1], 0x0
	s_load_b128 s[8:11], s[0:1], 0x40
	s_load_b128 s[12:15], s[0:1], 0x20
	s_load_b64 s[2:3], s[0:1], 0x50
	s_load_b64 s[16:17], s[0:1], 0x30
	s_bfe_u32 s21, ttmp6, 0x4000c
	s_and_b32 s23, ttmp6, 15
	s_add_co_i32 s21, s21, 1
	v_mov_b32_e32 v1, 0
	s_mul_i32 s21, ttmp9, s21
	s_wait_xcnt 0x0
	s_add_nc_u64 s[0:1], s[0:1], 0x68
	s_add_co_i32 s23, s23, s21
	s_cmp_eq_u32 s20, 0
	s_cselect_b32 s20, ttmp9, s23
	s_wait_kmcnt 0x0
	v_cmp_neq_f64_e64 s21, s[6:7], 0
	s_add_co_i32 s22, s22, -1
	s_lshl_b64 s[10:11], s[10:11], 3
	s_lshl_b64 s[14:15], s[14:15], 3
	s_branch .LBB47_4
.LBB47_2:                               ;   in Loop: Header=BB47_4 Depth=1
	s_wait_xcnt 0x0
	s_or_b32 exec_lo, exec_lo, s23
.LBB47_3:                               ;   in Loop: Header=BB47_4 Depth=1
	s_add_co_i32 s19, s19, 0x10000
	s_delay_alu instid0(SALU_CYCLE_1)
	s_cmp_lt_u32 s19, s18
	s_cbranch_scc0 .LBB47_7
.LBB47_4:                               ; =>This Inner Loop Header: Depth=1
	s_and_not1_b32 vcc_lo, exec_lo, s21
	s_cbranch_vccnz .LBB47_3
; %bb.5:                                ;   in Loop: Header=BB47_4 Depth=1
	s_load_b32 s23, s[0:1], 0xc
	s_wait_kmcnt 0x0
	s_and_b32 s23, s23, 0xffff
	s_delay_alu instid0(SALU_CYCLE_1) | instskip(SKIP_1) | instid1(VALU_DEP_1)
	v_mad_nc_u64_u32 v[2:3], s23, s20, v[0:1]
	s_mov_b32 s23, exec_lo
	v_cmpx_gt_u64_e64 s[4:5], v[2:3]
	s_cbranch_execz .LBB47_2
; %bb.6:                                ;   in Loop: Header=BB47_4 Depth=1
	v_not_b32_e32 v3, v3
	v_not_b32_e32 v2, v2
	s_load_b64 s[24:25], s[12:13], s19 offset:0x0 scale_offset
	s_load_b64 s[26:27], s[8:9], s19 offset:0x0 scale_offset
	s_delay_alu instid0(VALU_DEP_1) | instskip(NEXT) | instid1(VALU_DEP_1)
	v_add_nc_u64_e32 v[2:3], s[4:5], v[2:3]
	v_lshlrev_b64_e32 v[4:5], 3, v[2:3]
	v_sub_nc_u32_e32 v2, s22, v2
	s_delay_alu instid0(VALU_DEP_2) | instskip(NEXT) | instid1(VALU_DEP_3)
	v_cvt_f64_u32_e32 v[6:7], v5
	v_or_b32_e32 v3, 1, v4
	s_wait_kmcnt 0x0
	s_add_nc_u64 s[24:25], s[24:25], s[14:15]
	s_add_nc_u64 s[26:27], s[26:27], s[10:11]
	s_delay_alu instid0(VALU_DEP_1) | instskip(NEXT) | instid1(VALU_DEP_3)
	v_cvt_f64_u32_e32 v[4:5], v3
	v_ldexp_f64 v[6:7], v[6:7], 32
	s_delay_alu instid0(VALU_DEP_1) | instskip(NEXT) | instid1(VALU_DEP_1)
	v_add_f64_e32 v[4:5], v[6:7], v[4:5]
	v_cmp_gt_f64_e32 vcc_lo, 0x10000000, v[4:5]
	v_cndmask_b32_e64 v3, 0, 0x100, vcc_lo
	s_delay_alu instid0(VALU_DEP_1) | instskip(SKIP_1) | instid1(VALU_DEP_2)
	v_ldexp_f64 v[4:5], v[4:5], v3
	v_cndmask_b32_e64 v3, 0, 0xffffff80, vcc_lo
	v_rsq_f64_e32 v[6:7], v[4:5]
	v_cmp_class_f64_e64 vcc_lo, v[4:5], 0x260
	s_delay_alu instid0(TRANS32_DEP_1) | instskip(SKIP_1) | instid1(VALU_DEP_1)
	v_mul_f64_e32 v[8:9], v[4:5], v[6:7]
	v_mul_f64_e32 v[6:7], 0.5, v[6:7]
	v_fma_f64 v[10:11], -v[6:7], v[8:9], 0.5
	s_delay_alu instid0(VALU_DEP_1) | instskip(SKIP_1) | instid1(VALU_DEP_2)
	v_fmac_f64_e32 v[8:9], v[8:9], v[10:11]
	v_fmac_f64_e32 v[6:7], v[6:7], v[10:11]
	v_fma_f64 v[10:11], -v[8:9], v[8:9], v[4:5]
	s_delay_alu instid0(VALU_DEP_1) | instskip(NEXT) | instid1(VALU_DEP_1)
	v_fmac_f64_e32 v[8:9], v[10:11], v[6:7]
	v_fma_f64 v[10:11], -v[8:9], v[8:9], v[4:5]
	s_delay_alu instid0(VALU_DEP_1) | instskip(NEXT) | instid1(VALU_DEP_1)
	v_fmac_f64_e32 v[8:9], v[10:11], v[6:7]
	v_ldexp_f64 v[6:7], v[8:9], v3
	s_delay_alu instid0(VALU_DEP_1) | instskip(NEXT) | instid1(VALU_DEP_1)
	v_dual_cndmask_b32 v5, v7, v5 :: v_dual_cndmask_b32 v4, v6, v4
	v_add_f64_e32 v[4:5], -1.0, v[4:5]
	s_delay_alu instid0(VALU_DEP_1) | instskip(NEXT) | instid1(VALU_DEP_1)
	v_mul_f64_e32 v[4:5], 0.5, v[4:5]
	v_cvt_i32_f64_e32 v6, v[4:5]
	s_delay_alu instid0(VALU_DEP_1) | instskip(NEXT) | instid1(VALU_DEP_1)
	v_mad_u32 v3, v6, v6, v6
	v_lshrrev_b32_e32 v4, 31, v3
	s_delay_alu instid0(VALU_DEP_1) | instskip(NEXT) | instid1(VALU_DEP_1)
	v_add_nc_u32_e32 v3, v3, v4
	v_ashrrev_i32_e32 v3, 1, v3
	s_delay_alu instid0(VALU_DEP_1) | instskip(NEXT) | instid1(VALU_DEP_1)
	v_add_nc_u32_e32 v2, v2, v3
	v_ashrrev_i32_e32 v3, 31, v2
	s_delay_alu instid0(VALU_DEP_1) | instskip(NEXT) | instid1(VALU_DEP_1)
	v_mul_u64_e32 v[4:5], s[16:17], v[2:3]
	v_lshl_add_u64 v[4:5], v[4:5], 3, s[24:25]
	flat_load_b64 v[4:5], v[4:5]
	s_wait_loadcnt_dscnt 0x0
	s_wait_xcnt 0x0
	v_dual_mul_f64 v[4:5], s[6:7], v[4:5] :: v_dual_sub_nc_u32 v6, s22, v6
	s_delay_alu instid0(VALU_DEP_1) | instskip(NEXT) | instid1(VALU_DEP_1)
	v_ashrrev_i32_e32 v7, 31, v6
	v_mul_u64_e32 v[8:9], s[2:3], v[6:7]
	v_mul_u64_e32 v[6:7], s[16:17], v[6:7]
	s_delay_alu instid0(VALU_DEP_2) | instskip(NEXT) | instid1(VALU_DEP_2)
	v_lshl_add_u64 v[8:9], v[8:9], 3, s[26:27]
	v_lshl_add_u64 v[6:7], v[6:7], 3, s[24:25]
	s_delay_alu instid0(VALU_DEP_2)
	v_lshl_add_u64 v[2:3], v[2:3], 3, v[8:9]
	flat_load_b64 v[8:9], v[6:7]
	flat_load_b64 v[10:11], v[2:3]
	s_wait_loadcnt_dscnt 0x0
	v_fmac_f64_e32 v[10:11], v[4:5], v[8:9]
	flat_store_b64 v[2:3], v[10:11]
	s_branch .LBB47_2
.LBB47_7:
	s_endpgm
	.section	.rodata,"a",@progbits
	.p2align	6, 0x0
	.amdhsa_kernel _ZL18rocblas_syr_kernelILb0ELi1024EddPKPKdPKPdEvimT2_lT3_lllT4_llli
		.amdhsa_group_segment_fixed_size 0
		.amdhsa_private_segment_fixed_size 0
		.amdhsa_kernarg_size 360
		.amdhsa_user_sgpr_count 2
		.amdhsa_user_sgpr_dispatch_ptr 0
		.amdhsa_user_sgpr_queue_ptr 0
		.amdhsa_user_sgpr_kernarg_segment_ptr 1
		.amdhsa_user_sgpr_dispatch_id 0
		.amdhsa_user_sgpr_kernarg_preload_length 0
		.amdhsa_user_sgpr_kernarg_preload_offset 0
		.amdhsa_user_sgpr_private_segment_size 0
		.amdhsa_wavefront_size32 1
		.amdhsa_uses_dynamic_stack 0
		.amdhsa_enable_private_segment 0
		.amdhsa_system_sgpr_workgroup_id_x 1
		.amdhsa_system_sgpr_workgroup_id_y 0
		.amdhsa_system_sgpr_workgroup_id_z 1
		.amdhsa_system_sgpr_workgroup_info 0
		.amdhsa_system_vgpr_workitem_id 0
		.amdhsa_next_free_vgpr 12
		.amdhsa_next_free_sgpr 28
		.amdhsa_named_barrier_count 0
		.amdhsa_reserve_vcc 1
		.amdhsa_float_round_mode_32 0
		.amdhsa_float_round_mode_16_64 0
		.amdhsa_float_denorm_mode_32 3
		.amdhsa_float_denorm_mode_16_64 3
		.amdhsa_fp16_overflow 0
		.amdhsa_memory_ordered 1
		.amdhsa_forward_progress 1
		.amdhsa_inst_pref_size 6
		.amdhsa_round_robin_scheduling 0
		.amdhsa_exception_fp_ieee_invalid_op 0
		.amdhsa_exception_fp_denorm_src 0
		.amdhsa_exception_fp_ieee_div_zero 0
		.amdhsa_exception_fp_ieee_overflow 0
		.amdhsa_exception_fp_ieee_underflow 0
		.amdhsa_exception_fp_ieee_inexact 0
		.amdhsa_exception_int_div_zero 0
	.end_amdhsa_kernel
	.section	.text._ZL18rocblas_syr_kernelILb0ELi1024EddPKPKdPKPdEvimT2_lT3_lllT4_llli,"axG",@progbits,_ZL18rocblas_syr_kernelILb0ELi1024EddPKPKdPKPdEvimT2_lT3_lllT4_llli,comdat
.Lfunc_end47:
	.size	_ZL18rocblas_syr_kernelILb0ELi1024EddPKPKdPKPdEvimT2_lT3_lllT4_llli, .Lfunc_end47-_ZL18rocblas_syr_kernelILb0ELi1024EddPKPKdPKPdEvimT2_lT3_lllT4_llli
                                        ; -- End function
	.set _ZL18rocblas_syr_kernelILb0ELi1024EddPKPKdPKPdEvimT2_lT3_lllT4_llli.num_vgpr, 12
	.set _ZL18rocblas_syr_kernelILb0ELi1024EddPKPKdPKPdEvimT2_lT3_lllT4_llli.num_agpr, 0
	.set _ZL18rocblas_syr_kernelILb0ELi1024EddPKPKdPKPdEvimT2_lT3_lllT4_llli.numbered_sgpr, 28
	.set _ZL18rocblas_syr_kernelILb0ELi1024EddPKPKdPKPdEvimT2_lT3_lllT4_llli.num_named_barrier, 0
	.set _ZL18rocblas_syr_kernelILb0ELi1024EddPKPKdPKPdEvimT2_lT3_lllT4_llli.private_seg_size, 0
	.set _ZL18rocblas_syr_kernelILb0ELi1024EddPKPKdPKPdEvimT2_lT3_lllT4_llli.uses_vcc, 1
	.set _ZL18rocblas_syr_kernelILb0ELi1024EddPKPKdPKPdEvimT2_lT3_lllT4_llli.uses_flat_scratch, 0
	.set _ZL18rocblas_syr_kernelILb0ELi1024EddPKPKdPKPdEvimT2_lT3_lllT4_llli.has_dyn_sized_stack, 0
	.set _ZL18rocblas_syr_kernelILb0ELi1024EddPKPKdPKPdEvimT2_lT3_lllT4_llli.has_recursion, 0
	.set _ZL18rocblas_syr_kernelILb0ELi1024EddPKPKdPKPdEvimT2_lT3_lllT4_llli.has_indirect_call, 0
	.section	.AMDGPU.csdata,"",@progbits
; Kernel info:
; codeLenInByte = 712
; TotalNumSgprs: 30
; NumVgprs: 12
; ScratchSize: 0
; MemoryBound: 0
; FloatMode: 240
; IeeeMode: 1
; LDSByteSize: 0 bytes/workgroup (compile time only)
; SGPRBlocks: 0
; VGPRBlocks: 0
; NumSGPRsForWavesPerEU: 30
; NumVGPRsForWavesPerEU: 12
; NamedBarCnt: 0
; Occupancy: 16
; WaveLimiterHint : 1
; COMPUTE_PGM_RSRC2:SCRATCH_EN: 0
; COMPUTE_PGM_RSRC2:USER_SGPR: 2
; COMPUTE_PGM_RSRC2:TRAP_HANDLER: 0
; COMPUTE_PGM_RSRC2:TGID_X_EN: 1
; COMPUTE_PGM_RSRC2:TGID_Y_EN: 0
; COMPUTE_PGM_RSRC2:TGID_Z_EN: 1
; COMPUTE_PGM_RSRC2:TIDIG_COMP_CNT: 0
	.section	.text._ZL23rocblas_syr_kernel_inc1ILb1ELi1024E19rocblas_complex_numIfEPKS1_PKS3_PKPS1_EvimT2_lT3_llT4_llli,"axG",@progbits,_ZL23rocblas_syr_kernel_inc1ILb1ELi1024E19rocblas_complex_numIfEPKS1_PKS3_PKPS1_EvimT2_lT3_llT4_llli,comdat
	.globl	_ZL23rocblas_syr_kernel_inc1ILb1ELi1024E19rocblas_complex_numIfEPKS1_PKS3_PKPS1_EvimT2_lT3_llT4_llli ; -- Begin function _ZL23rocblas_syr_kernel_inc1ILb1ELi1024E19rocblas_complex_numIfEPKS1_PKS3_PKPS1_EvimT2_lT3_llT4_llli
	.p2align	8
	.type	_ZL23rocblas_syr_kernel_inc1ILb1ELi1024E19rocblas_complex_numIfEPKS1_PKS3_PKPS1_EvimT2_lT3_llT4_llli,@function
_ZL23rocblas_syr_kernel_inc1ILb1ELi1024E19rocblas_complex_numIfEPKS1_PKS3_PKPS1_EvimT2_lT3_llT4_llli: ; @_ZL23rocblas_syr_kernel_inc1ILb1ELi1024E19rocblas_complex_numIfEPKS1_PKS3_PKPS1_EvimT2_lT3_llT4_llli
; %bb.0:
	s_load_b32 s20, s[0:1], 0x58
	s_bfe_u32 s2, ttmp6, 0x40014
	s_lshr_b32 s3, ttmp7, 16
	s_add_co_i32 s2, s2, 1
	s_bfe_u32 s4, ttmp6, 0x40008
	s_mul_i32 s2, s3, s2
	s_getreg_b32 s18, hwreg(HW_REG_IB_STS2, 6, 4)
	s_add_co_i32 s4, s4, s2
	s_cmp_eq_u32 s18, 0
	s_cselect_b32 s2, s3, s4
	s_mov_b32 s3, 0
	s_wait_kmcnt 0x0
	s_cmp_ge_u32 s2, s20
	s_cbranch_scc1 .LBB48_7
; %bb.1:
	s_clause 0x3
	s_load_b128 s[12:15], s[0:1], 0x38
	s_load_b64 s[22:23], s[0:1], 0x28
	s_load_b256 s[4:11], s[0:1], 0x8
	s_load_b64 s[16:17], s[0:1], 0x48
	s_bfe_u32 s19, ttmp6, 0x4000c
	s_and_b32 s21, ttmp6, 15
	s_add_co_i32 s19, s19, 1
	v_mov_b32_e32 v1, 0
	s_mul_i32 s19, ttmp9, s19
	s_wait_xcnt 0x0
	s_add_nc_u64 s[0:1], s[0:1], 0x60
	s_add_co_i32 s21, s21, s19
	s_cmp_eq_u32 s18, 0
	s_cselect_b32 s21, ttmp9, s21
	s_wait_kmcnt 0x0
	s_lshl_b64 s[14:15], s[14:15], 3
	s_lshl_b64 s[18:19], s[22:23], 3
	s_branch .LBB48_4
.LBB48_2:                               ;   in Loop: Header=BB48_4 Depth=1
	s_wait_xcnt 0x0
	s_or_b32 exec_lo, exec_lo, s22
.LBB48_3:                               ;   in Loop: Header=BB48_4 Depth=1
	s_add_co_i32 s2, s2, 0x10000
	s_delay_alu instid0(SALU_CYCLE_1)
	s_cmp_lt_u32 s2, s20
	s_cbranch_scc0 .LBB48_7
.LBB48_4:                               ; =>This Inner Loop Header: Depth=1
	s_wait_xcnt 0x0
	s_mul_u64 s[22:23], s[8:9], s[2:3]
	s_delay_alu instid0(SALU_CYCLE_1) | instskip(NEXT) | instid1(SALU_CYCLE_1)
	s_lshl_b64 s[22:23], s[22:23], 3
	s_add_nc_u64 s[22:23], s[6:7], s[22:23]
	global_load_b64 v[2:3], v1, s[22:23]
	s_wait_loadcnt 0x0
	v_or_b32_e32 v4, v2, v3
	s_delay_alu instid0(VALU_DEP_1) | instskip(NEXT) | instid1(VALU_DEP_1)
	v_and_b32_e32 v4, 0x7fffffff, v4
	v_cmp_eq_u32_e32 vcc_lo, 0, v4
	s_cbranch_vccnz .LBB48_3
; %bb.5:                                ;   in Loop: Header=BB48_4 Depth=1
	s_wait_xcnt 0x0
	s_load_b32 s22, s[0:1], 0xc
	s_wait_kmcnt 0x0
	s_and_b32 s22, s22, 0xffff
	s_delay_alu instid0(SALU_CYCLE_1) | instskip(SKIP_1) | instid1(VALU_DEP_1)
	v_mad_nc_u64_u32 v[4:5], s22, s21, v[0:1]
	s_mov_b32 s22, exec_lo
	v_cmpx_gt_u64_e64 s[4:5], v[4:5]
	s_cbranch_execz .LBB48_2
; %bb.6:                                ;   in Loop: Header=BB48_4 Depth=1
	v_lshlrev_b64_e32 v[6:7], 3, v[4:5]
	s_lshl_b64 s[24:25], s[2:3], 3
	s_delay_alu instid0(SALU_CYCLE_1)
	s_add_nc_u64 s[26:27], s[10:11], s[24:25]
	s_add_nc_u64 s[24:25], s[12:13], s[24:25]
	s_clause 0x1
	global_load_b64 v[14:15], v1, s[26:27]
	global_load_b64 v[16:17], v1, s[24:25]
	v_cvt_f64_u32_e32 v[8:9], v7
	v_or_b32_e32 v5, 1, v6
	s_delay_alu instid0(VALU_DEP_1) | instskip(NEXT) | instid1(VALU_DEP_3)
	v_cvt_f64_u32_e32 v[6:7], v5
	v_ldexp_f64 v[8:9], v[8:9], 32
	s_delay_alu instid0(VALU_DEP_1) | instskip(NEXT) | instid1(VALU_DEP_1)
	v_add_f64_e32 v[6:7], v[8:9], v[6:7]
	v_cmp_gt_f64_e32 vcc_lo, 0x10000000, v[6:7]
	v_cndmask_b32_e64 v5, 0, 0x100, vcc_lo
	s_delay_alu instid0(VALU_DEP_1) | instskip(SKIP_1) | instid1(VALU_DEP_2)
	v_ldexp_f64 v[6:7], v[6:7], v5
	v_cndmask_b32_e64 v5, 0, 0xffffff80, vcc_lo
	v_rsq_f64_e32 v[8:9], v[6:7]
	v_cmp_class_f64_e64 vcc_lo, v[6:7], 0x260
	s_delay_alu instid0(TRANS32_DEP_1) | instskip(SKIP_1) | instid1(VALU_DEP_1)
	v_mul_f64_e32 v[10:11], v[6:7], v[8:9]
	v_mul_f64_e32 v[8:9], 0.5, v[8:9]
	v_fma_f64 v[12:13], -v[8:9], v[10:11], 0.5
	s_delay_alu instid0(VALU_DEP_1) | instskip(SKIP_1) | instid1(VALU_DEP_2)
	v_fmac_f64_e32 v[10:11], v[10:11], v[12:13]
	v_fmac_f64_e32 v[8:9], v[8:9], v[12:13]
	v_fma_f64 v[12:13], -v[10:11], v[10:11], v[6:7]
	s_delay_alu instid0(VALU_DEP_1) | instskip(NEXT) | instid1(VALU_DEP_1)
	v_fmac_f64_e32 v[10:11], v[12:13], v[8:9]
	v_fma_f64 v[12:13], -v[10:11], v[10:11], v[6:7]
	s_delay_alu instid0(VALU_DEP_1) | instskip(SKIP_2) | instid1(VALU_DEP_2)
	v_fmac_f64_e32 v[10:11], v[12:13], v[8:9]
	s_wait_loadcnt 0x0
	v_add_nc_u64_e32 v[12:13], s[14:15], v[16:17]
	v_ldexp_f64 v[8:9], v[10:11], v5
	s_delay_alu instid0(VALU_DEP_1) | instskip(NEXT) | instid1(VALU_DEP_1)
	v_dual_cndmask_b32 v7, v9, v7 :: v_dual_cndmask_b32 v6, v8, v6
	v_add_f64_e32 v[6:7], -1.0, v[6:7]
	s_delay_alu instid0(VALU_DEP_1) | instskip(NEXT) | instid1(VALU_DEP_1)
	v_mul_f64_e32 v[6:7], 0.5, v[6:7]
	v_cvt_i32_f64_e32 v6, v[6:7]
	s_delay_alu instid0(VALU_DEP_1) | instskip(SKIP_1) | instid1(VALU_DEP_1)
	v_mad_u32 v5, v6, v6, v6
	v_ashrrev_i32_e32 v7, 31, v6
	v_mul_u64_e32 v[8:9], s[16:17], v[6:7]
	s_delay_alu instid0(VALU_DEP_3) | instskip(NEXT) | instid1(VALU_DEP_1)
	v_lshrrev_b32_e32 v10, 31, v5
	v_add_nc_u32_e32 v5, v5, v10
	v_add_nc_u64_e32 v[10:11], s[18:19], v[14:15]
	s_delay_alu instid0(VALU_DEP_2) | instskip(SKIP_1) | instid1(VALU_DEP_2)
	v_ashrrev_i32_e32 v5, 1, v5
	s_wait_xcnt 0x0
	v_readfirstlane_b32 s24, v10
	s_delay_alu instid0(VALU_DEP_3) | instskip(NEXT) | instid1(VALU_DEP_3)
	v_readfirstlane_b32 s25, v11
	v_sub_nc_u32_e32 v4, v4, v5
	s_clause 0x1
	flat_load_b64 v[6:7], v6, s[24:25] scale_offset
	flat_load_b64 v[10:11], v4, s[24:25] scale_offset
	v_ashrrev_i32_e32 v5, 31, v4
	v_lshl_add_u64 v[8:9], v[8:9], 3, v[12:13]
	s_wait_xcnt 0x0
	s_delay_alu instid0(VALU_DEP_1) | instskip(SKIP_4) | instid1(VALU_DEP_2)
	v_lshl_add_u64 v[4:5], v[4:5], 3, v[8:9]
	flat_load_b64 v[8:9], v[4:5]
	s_wait_loadcnt_dscnt 0x101
	v_pk_mul_f32 v[12:13], v[10:11], v[2:3] op_sel:[0,1] op_sel_hi:[1,0]
	v_pk_mul_f32 v[2:3], v[10:11], v[2:3]
	v_add_f32_e32 v12, v12, v13
	s_delay_alu instid0(VALU_DEP_2) | instskip(NEXT) | instid1(VALU_DEP_2)
	v_pk_add_f32 v[2:3], v[2:3], v[2:3] op_sel:[0,1] op_sel_hi:[0,1] neg_lo:[0,1] neg_hi:[0,1]
	v_pk_mul_f32 v[10:11], v[6:7], v[12:13] op_sel:[1,0] op_sel_hi:[0,0]
	s_delay_alu instid0(VALU_DEP_1) | instskip(SKIP_1) | instid1(VALU_DEP_2)
	v_pk_fma_f32 v[12:13], v[6:7], v[2:3], v[10:11]
	v_pk_fma_f32 v[2:3], v[6:7], v[2:3], v[10:11] neg_lo:[0,0,1] neg_hi:[0,0,1]
	v_mov_b32_e32 v3, v13
	s_wait_loadcnt_dscnt 0x0
	s_delay_alu instid0(VALU_DEP_1)
	v_pk_add_f32 v[2:3], v[8:9], v[2:3]
	flat_store_b64 v[4:5], v[2:3]
	s_branch .LBB48_2
.LBB48_7:
	s_endpgm
	.section	.rodata,"a",@progbits
	.p2align	6, 0x0
	.amdhsa_kernel _ZL23rocblas_syr_kernel_inc1ILb1ELi1024E19rocblas_complex_numIfEPKS1_PKS3_PKPS1_EvimT2_lT3_llT4_llli
		.amdhsa_group_segment_fixed_size 0
		.amdhsa_private_segment_fixed_size 0
		.amdhsa_kernarg_size 352
		.amdhsa_user_sgpr_count 2
		.amdhsa_user_sgpr_dispatch_ptr 0
		.amdhsa_user_sgpr_queue_ptr 0
		.amdhsa_user_sgpr_kernarg_segment_ptr 1
		.amdhsa_user_sgpr_dispatch_id 0
		.amdhsa_user_sgpr_kernarg_preload_length 0
		.amdhsa_user_sgpr_kernarg_preload_offset 0
		.amdhsa_user_sgpr_private_segment_size 0
		.amdhsa_wavefront_size32 1
		.amdhsa_uses_dynamic_stack 0
		.amdhsa_enable_private_segment 0
		.amdhsa_system_sgpr_workgroup_id_x 1
		.amdhsa_system_sgpr_workgroup_id_y 0
		.amdhsa_system_sgpr_workgroup_id_z 1
		.amdhsa_system_sgpr_workgroup_info 0
		.amdhsa_system_vgpr_workitem_id 0
		.amdhsa_next_free_vgpr 18
		.amdhsa_next_free_sgpr 28
		.amdhsa_named_barrier_count 0
		.amdhsa_reserve_vcc 1
		.amdhsa_float_round_mode_32 0
		.amdhsa_float_round_mode_16_64 0
		.amdhsa_float_denorm_mode_32 3
		.amdhsa_float_denorm_mode_16_64 3
		.amdhsa_fp16_overflow 0
		.amdhsa_memory_ordered 1
		.amdhsa_forward_progress 1
		.amdhsa_inst_pref_size 7
		.amdhsa_round_robin_scheduling 0
		.amdhsa_exception_fp_ieee_invalid_op 0
		.amdhsa_exception_fp_denorm_src 0
		.amdhsa_exception_fp_ieee_div_zero 0
		.amdhsa_exception_fp_ieee_overflow 0
		.amdhsa_exception_fp_ieee_underflow 0
		.amdhsa_exception_fp_ieee_inexact 0
		.amdhsa_exception_int_div_zero 0
	.end_amdhsa_kernel
	.section	.text._ZL23rocblas_syr_kernel_inc1ILb1ELi1024E19rocblas_complex_numIfEPKS1_PKS3_PKPS1_EvimT2_lT3_llT4_llli,"axG",@progbits,_ZL23rocblas_syr_kernel_inc1ILb1ELi1024E19rocblas_complex_numIfEPKS1_PKS3_PKPS1_EvimT2_lT3_llT4_llli,comdat
.Lfunc_end48:
	.size	_ZL23rocblas_syr_kernel_inc1ILb1ELi1024E19rocblas_complex_numIfEPKS1_PKS3_PKPS1_EvimT2_lT3_llT4_llli, .Lfunc_end48-_ZL23rocblas_syr_kernel_inc1ILb1ELi1024E19rocblas_complex_numIfEPKS1_PKS3_PKPS1_EvimT2_lT3_llT4_llli
                                        ; -- End function
	.set _ZL23rocblas_syr_kernel_inc1ILb1ELi1024E19rocblas_complex_numIfEPKS1_PKS3_PKPS1_EvimT2_lT3_llT4_llli.num_vgpr, 18
	.set _ZL23rocblas_syr_kernel_inc1ILb1ELi1024E19rocblas_complex_numIfEPKS1_PKS3_PKPS1_EvimT2_lT3_llT4_llli.num_agpr, 0
	.set _ZL23rocblas_syr_kernel_inc1ILb1ELi1024E19rocblas_complex_numIfEPKS1_PKS3_PKPS1_EvimT2_lT3_llT4_llli.numbered_sgpr, 28
	.set _ZL23rocblas_syr_kernel_inc1ILb1ELi1024E19rocblas_complex_numIfEPKS1_PKS3_PKPS1_EvimT2_lT3_llT4_llli.num_named_barrier, 0
	.set _ZL23rocblas_syr_kernel_inc1ILb1ELi1024E19rocblas_complex_numIfEPKS1_PKS3_PKPS1_EvimT2_lT3_llT4_llli.private_seg_size, 0
	.set _ZL23rocblas_syr_kernel_inc1ILb1ELi1024E19rocblas_complex_numIfEPKS1_PKS3_PKPS1_EvimT2_lT3_llT4_llli.uses_vcc, 1
	.set _ZL23rocblas_syr_kernel_inc1ILb1ELi1024E19rocblas_complex_numIfEPKS1_PKS3_PKPS1_EvimT2_lT3_llT4_llli.uses_flat_scratch, 1
	.set _ZL23rocblas_syr_kernel_inc1ILb1ELi1024E19rocblas_complex_numIfEPKS1_PKS3_PKPS1_EvimT2_lT3_llT4_llli.has_dyn_sized_stack, 0
	.set _ZL23rocblas_syr_kernel_inc1ILb1ELi1024E19rocblas_complex_numIfEPKS1_PKS3_PKPS1_EvimT2_lT3_llT4_llli.has_recursion, 0
	.set _ZL23rocblas_syr_kernel_inc1ILb1ELi1024E19rocblas_complex_numIfEPKS1_PKS3_PKPS1_EvimT2_lT3_llT4_llli.has_indirect_call, 0
	.section	.AMDGPU.csdata,"",@progbits
; Kernel info:
; codeLenInByte = 792
; TotalNumSgprs: 30
; NumVgprs: 18
; ScratchSize: 0
; MemoryBound: 0
; FloatMode: 240
; IeeeMode: 1
; LDSByteSize: 0 bytes/workgroup (compile time only)
; SGPRBlocks: 0
; VGPRBlocks: 1
; NumSGPRsForWavesPerEU: 30
; NumVGPRsForWavesPerEU: 18
; NamedBarCnt: 0
; Occupancy: 16
; WaveLimiterHint : 1
; COMPUTE_PGM_RSRC2:SCRATCH_EN: 0
; COMPUTE_PGM_RSRC2:USER_SGPR: 2
; COMPUTE_PGM_RSRC2:TRAP_HANDLER: 0
; COMPUTE_PGM_RSRC2:TGID_X_EN: 1
; COMPUTE_PGM_RSRC2:TGID_Y_EN: 0
; COMPUTE_PGM_RSRC2:TGID_Z_EN: 1
; COMPUTE_PGM_RSRC2:TIDIG_COMP_CNT: 0
	.section	.text._ZL18rocblas_syr_kernelILb1ELi1024E19rocblas_complex_numIfEPKS1_PKS3_PKPS1_EvimT2_lT3_lllT4_llli,"axG",@progbits,_ZL18rocblas_syr_kernelILb1ELi1024E19rocblas_complex_numIfEPKS1_PKS3_PKPS1_EvimT2_lT3_lllT4_llli,comdat
	.globl	_ZL18rocblas_syr_kernelILb1ELi1024E19rocblas_complex_numIfEPKS1_PKS3_PKPS1_EvimT2_lT3_lllT4_llli ; -- Begin function _ZL18rocblas_syr_kernelILb1ELi1024E19rocblas_complex_numIfEPKS1_PKS3_PKPS1_EvimT2_lT3_lllT4_llli
	.p2align	8
	.type	_ZL18rocblas_syr_kernelILb1ELi1024E19rocblas_complex_numIfEPKS1_PKS3_PKPS1_EvimT2_lT3_lllT4_llli,@function
_ZL18rocblas_syr_kernelILb1ELi1024E19rocblas_complex_numIfEPKS1_PKS3_PKPS1_EvimT2_lT3_lllT4_llli: ; @_ZL18rocblas_syr_kernelILb1ELi1024E19rocblas_complex_numIfEPKS1_PKS3_PKPS1_EvimT2_lT3_lllT4_llli
; %bb.0:
	s_load_b32 s22, s[0:1], 0x60
	s_bfe_u32 s2, ttmp6, 0x40014
	s_lshr_b32 s3, ttmp7, 16
	s_add_co_i32 s2, s2, 1
	s_bfe_u32 s4, ttmp6, 0x40008
	s_mul_i32 s2, s3, s2
	s_getreg_b32 s23, hwreg(HW_REG_IB_STS2, 6, 4)
	s_add_co_i32 s4, s4, s2
	s_cmp_eq_u32 s23, 0
	s_cselect_b32 s2, s3, s4
	s_mov_b32 s3, 0
	s_wait_kmcnt 0x0
	s_cmp_ge_u32 s2, s22
	s_cbranch_scc1 .LBB49_7
; %bb.1:
	s_clause 0x3
	s_load_b128 s[12:15], s[0:1], 0x40
	s_load_b128 s[16:19], s[0:1], 0x28
	s_load_b256 s[4:11], s[0:1], 0x8
	s_load_b64 s[20:21], s[0:1], 0x50
	s_bfe_u32 s24, ttmp6, 0x4000c
	s_and_b32 s25, ttmp6, 15
	s_add_co_i32 s24, s24, 1
	v_mov_b32_e32 v1, 0
	s_mul_i32 s24, ttmp9, s24
	s_wait_xcnt 0x0
	s_add_nc_u64 s[0:1], s[0:1], 0x68
	s_add_co_i32 s25, s25, s24
	s_cmp_eq_u32 s23, 0
	s_cselect_b32 s23, ttmp9, s25
	s_wait_kmcnt 0x0
	s_lshl_b64 s[14:15], s[14:15], 3
	s_lshl_b64 s[16:17], s[16:17], 3
	s_branch .LBB49_4
.LBB49_2:                               ;   in Loop: Header=BB49_4 Depth=1
	s_wait_xcnt 0x0
	s_or_b32 exec_lo, exec_lo, s24
.LBB49_3:                               ;   in Loop: Header=BB49_4 Depth=1
	s_add_co_i32 s2, s2, 0x10000
	s_delay_alu instid0(SALU_CYCLE_1)
	s_cmp_lt_u32 s2, s22
	s_cbranch_scc0 .LBB49_7
.LBB49_4:                               ; =>This Inner Loop Header: Depth=1
	s_wait_xcnt 0x0
	s_mul_u64 s[24:25], s[8:9], s[2:3]
	s_delay_alu instid0(SALU_CYCLE_1) | instskip(NEXT) | instid1(SALU_CYCLE_1)
	s_lshl_b64 s[24:25], s[24:25], 3
	s_add_nc_u64 s[24:25], s[6:7], s[24:25]
	global_load_b64 v[2:3], v1, s[24:25]
	s_wait_loadcnt 0x0
	v_or_b32_e32 v4, v2, v3
	s_delay_alu instid0(VALU_DEP_1) | instskip(NEXT) | instid1(VALU_DEP_1)
	v_and_b32_e32 v4, 0x7fffffff, v4
	v_cmp_eq_u32_e32 vcc_lo, 0, v4
	s_cbranch_vccnz .LBB49_3
; %bb.5:                                ;   in Loop: Header=BB49_4 Depth=1
	s_wait_xcnt 0x0
	s_load_b32 s24, s[0:1], 0xc
	s_wait_kmcnt 0x0
	s_and_b32 s24, s24, 0xffff
	s_delay_alu instid0(SALU_CYCLE_1) | instskip(SKIP_1) | instid1(VALU_DEP_1)
	v_mad_nc_u64_u32 v[4:5], s24, s23, v[0:1]
	s_mov_b32 s24, exec_lo
	v_cmpx_gt_u64_e64 s[4:5], v[4:5]
	s_cbranch_execz .LBB49_2
; %bb.6:                                ;   in Loop: Header=BB49_4 Depth=1
	v_lshlrev_b64_e32 v[6:7], 3, v[4:5]
	s_lshl_b64 s[26:27], s[2:3], 3
	s_delay_alu instid0(SALU_CYCLE_1)
	s_add_nc_u64 s[28:29], s[10:11], s[26:27]
	s_add_nc_u64 s[26:27], s[12:13], s[26:27]
	s_clause 0x1
	global_load_b64 v[14:15], v1, s[28:29]
	global_load_b64 v[16:17], v1, s[26:27]
	v_cvt_f64_u32_e32 v[8:9], v7
	v_or_b32_e32 v5, 1, v6
	s_delay_alu instid0(VALU_DEP_1) | instskip(NEXT) | instid1(VALU_DEP_3)
	v_cvt_f64_u32_e32 v[6:7], v5
	v_ldexp_f64 v[8:9], v[8:9], 32
	s_delay_alu instid0(VALU_DEP_1) | instskip(NEXT) | instid1(VALU_DEP_1)
	v_add_f64_e32 v[6:7], v[8:9], v[6:7]
	v_cmp_gt_f64_e32 vcc_lo, 0x10000000, v[6:7]
	v_cndmask_b32_e64 v5, 0, 0x100, vcc_lo
	s_delay_alu instid0(VALU_DEP_1) | instskip(SKIP_1) | instid1(VALU_DEP_2)
	v_ldexp_f64 v[6:7], v[6:7], v5
	v_cndmask_b32_e64 v5, 0, 0xffffff80, vcc_lo
	v_rsq_f64_e32 v[8:9], v[6:7]
	v_cmp_class_f64_e64 vcc_lo, v[6:7], 0x260
	s_delay_alu instid0(TRANS32_DEP_1) | instskip(SKIP_1) | instid1(VALU_DEP_1)
	v_mul_f64_e32 v[10:11], v[6:7], v[8:9]
	v_mul_f64_e32 v[8:9], 0.5, v[8:9]
	v_fma_f64 v[12:13], -v[8:9], v[10:11], 0.5
	s_delay_alu instid0(VALU_DEP_1) | instskip(SKIP_1) | instid1(VALU_DEP_2)
	v_fmac_f64_e32 v[10:11], v[10:11], v[12:13]
	v_fmac_f64_e32 v[8:9], v[8:9], v[12:13]
	v_fma_f64 v[12:13], -v[10:11], v[10:11], v[6:7]
	s_delay_alu instid0(VALU_DEP_1) | instskip(NEXT) | instid1(VALU_DEP_1)
	v_fmac_f64_e32 v[10:11], v[12:13], v[8:9]
	v_fma_f64 v[12:13], -v[10:11], v[10:11], v[6:7]
	s_delay_alu instid0(VALU_DEP_1) | instskip(SKIP_2) | instid1(VALU_DEP_2)
	v_fmac_f64_e32 v[10:11], v[12:13], v[8:9]
	s_wait_loadcnt 0x1
	v_add_nc_u64_e32 v[12:13], s[16:17], v[14:15]
	v_ldexp_f64 v[8:9], v[10:11], v5
	s_delay_alu instid0(VALU_DEP_1) | instskip(NEXT) | instid1(VALU_DEP_1)
	v_dual_cndmask_b32 v7, v9, v7 :: v_dual_cndmask_b32 v6, v8, v6
	v_add_f64_e32 v[6:7], -1.0, v[6:7]
	s_delay_alu instid0(VALU_DEP_1) | instskip(NEXT) | instid1(VALU_DEP_1)
	v_mul_f64_e32 v[6:7], 0.5, v[6:7]
	v_cvt_i32_f64_e32 v6, v[6:7]
	s_delay_alu instid0(VALU_DEP_1) | instskip(NEXT) | instid1(VALU_DEP_1)
	v_mad_u32 v5, v6, v6, v6
	v_lshrrev_b32_e32 v7, 31, v5
	s_delay_alu instid0(VALU_DEP_1) | instskip(NEXT) | instid1(VALU_DEP_1)
	v_dual_add_nc_u32 v5, v5, v7 :: v_dual_ashrrev_i32 v7, 31, v6
	v_ashrrev_i32_e32 v5, 1, v5
	s_delay_alu instid0(VALU_DEP_2) | instskip(SKIP_1) | instid1(VALU_DEP_3)
	v_mul_u64_e32 v[10:11], s[18:19], v[6:7]
	v_mul_u64_e32 v[6:7], s[20:21], v[6:7]
	v_sub_nc_u32_e32 v4, v4, v5
	s_delay_alu instid0(VALU_DEP_1) | instskip(NEXT) | instid1(VALU_DEP_1)
	v_ashrrev_i32_e32 v5, 31, v4
	v_mul_u64_e32 v[8:9], s[18:19], v[4:5]
	v_lshl_add_u64 v[10:11], v[10:11], 3, v[12:13]
	flat_load_b64 v[10:11], v[10:11]
	v_lshl_add_u64 v[8:9], v[8:9], 3, v[12:13]
	s_wait_loadcnt 0x1
	v_add_nc_u64_e32 v[12:13], s[14:15], v[16:17]
	flat_load_b64 v[8:9], v[8:9]
	v_lshl_add_u64 v[6:7], v[6:7], 3, v[12:13]
	s_delay_alu instid0(VALU_DEP_1) | instskip(SKIP_4) | instid1(VALU_DEP_2)
	v_lshl_add_u64 v[4:5], v[4:5], 3, v[6:7]
	flat_load_b64 v[6:7], v[4:5]
	s_wait_loadcnt_dscnt 0x101
	v_pk_mul_f32 v[12:13], v[8:9], v[2:3] op_sel:[0,1] op_sel_hi:[1,0]
	v_pk_mul_f32 v[2:3], v[8:9], v[2:3]
	v_add_f32_e32 v12, v12, v13
	s_delay_alu instid0(VALU_DEP_2) | instskip(SKIP_1) | instid1(VALU_DEP_2)
	v_pk_add_f32 v[2:3], v[2:3], v[2:3] op_sel:[0,1] op_sel_hi:[0,1] neg_lo:[0,1] neg_hi:[0,1]
	s_wait_xcnt 0x1
	v_pk_mul_f32 v[8:9], v[10:11], v[12:13] op_sel:[1,0] op_sel_hi:[0,0]
	s_delay_alu instid0(VALU_DEP_1) | instskip(SKIP_1) | instid1(VALU_DEP_2)
	v_pk_fma_f32 v[12:13], v[10:11], v[2:3], v[8:9]
	v_pk_fma_f32 v[2:3], v[10:11], v[2:3], v[8:9] neg_lo:[0,0,1] neg_hi:[0,0,1]
	v_mov_b32_e32 v3, v13
	s_wait_loadcnt_dscnt 0x0
	s_delay_alu instid0(VALU_DEP_1)
	v_pk_add_f32 v[2:3], v[6:7], v[2:3]
	flat_store_b64 v[4:5], v[2:3]
	s_branch .LBB49_2
.LBB49_7:
	s_endpgm
	.section	.rodata,"a",@progbits
	.p2align	6, 0x0
	.amdhsa_kernel _ZL18rocblas_syr_kernelILb1ELi1024E19rocblas_complex_numIfEPKS1_PKS3_PKPS1_EvimT2_lT3_lllT4_llli
		.amdhsa_group_segment_fixed_size 0
		.amdhsa_private_segment_fixed_size 0
		.amdhsa_kernarg_size 360
		.amdhsa_user_sgpr_count 2
		.amdhsa_user_sgpr_dispatch_ptr 0
		.amdhsa_user_sgpr_queue_ptr 0
		.amdhsa_user_sgpr_kernarg_segment_ptr 1
		.amdhsa_user_sgpr_dispatch_id 0
		.amdhsa_user_sgpr_kernarg_preload_length 0
		.amdhsa_user_sgpr_kernarg_preload_offset 0
		.amdhsa_user_sgpr_private_segment_size 0
		.amdhsa_wavefront_size32 1
		.amdhsa_uses_dynamic_stack 0
		.amdhsa_enable_private_segment 0
		.amdhsa_system_sgpr_workgroup_id_x 1
		.amdhsa_system_sgpr_workgroup_id_y 0
		.amdhsa_system_sgpr_workgroup_id_z 1
		.amdhsa_system_sgpr_workgroup_info 0
		.amdhsa_system_vgpr_workitem_id 0
		.amdhsa_next_free_vgpr 18
		.amdhsa_next_free_sgpr 30
		.amdhsa_named_barrier_count 0
		.amdhsa_reserve_vcc 1
		.amdhsa_float_round_mode_32 0
		.amdhsa_float_round_mode_16_64 0
		.amdhsa_float_denorm_mode_32 3
		.amdhsa_float_denorm_mode_16_64 3
		.amdhsa_fp16_overflow 0
		.amdhsa_memory_ordered 1
		.amdhsa_forward_progress 1
		.amdhsa_inst_pref_size 7
		.amdhsa_round_robin_scheduling 0
		.amdhsa_exception_fp_ieee_invalid_op 0
		.amdhsa_exception_fp_denorm_src 0
		.amdhsa_exception_fp_ieee_div_zero 0
		.amdhsa_exception_fp_ieee_overflow 0
		.amdhsa_exception_fp_ieee_underflow 0
		.amdhsa_exception_fp_ieee_inexact 0
		.amdhsa_exception_int_div_zero 0
	.end_amdhsa_kernel
	.section	.text._ZL18rocblas_syr_kernelILb1ELi1024E19rocblas_complex_numIfEPKS1_PKS3_PKPS1_EvimT2_lT3_lllT4_llli,"axG",@progbits,_ZL18rocblas_syr_kernelILb1ELi1024E19rocblas_complex_numIfEPKS1_PKS3_PKPS1_EvimT2_lT3_lllT4_llli,comdat
.Lfunc_end49:
	.size	_ZL18rocblas_syr_kernelILb1ELi1024E19rocblas_complex_numIfEPKS1_PKS3_PKPS1_EvimT2_lT3_lllT4_llli, .Lfunc_end49-_ZL18rocblas_syr_kernelILb1ELi1024E19rocblas_complex_numIfEPKS1_PKS3_PKPS1_EvimT2_lT3_lllT4_llli
                                        ; -- End function
	.set _ZL18rocblas_syr_kernelILb1ELi1024E19rocblas_complex_numIfEPKS1_PKS3_PKPS1_EvimT2_lT3_lllT4_llli.num_vgpr, 18
	.set _ZL18rocblas_syr_kernelILb1ELi1024E19rocblas_complex_numIfEPKS1_PKS3_PKPS1_EvimT2_lT3_lllT4_llli.num_agpr, 0
	.set _ZL18rocblas_syr_kernelILb1ELi1024E19rocblas_complex_numIfEPKS1_PKS3_PKPS1_EvimT2_lT3_lllT4_llli.numbered_sgpr, 30
	.set _ZL18rocblas_syr_kernelILb1ELi1024E19rocblas_complex_numIfEPKS1_PKS3_PKPS1_EvimT2_lT3_lllT4_llli.num_named_barrier, 0
	.set _ZL18rocblas_syr_kernelILb1ELi1024E19rocblas_complex_numIfEPKS1_PKS3_PKPS1_EvimT2_lT3_lllT4_llli.private_seg_size, 0
	.set _ZL18rocblas_syr_kernelILb1ELi1024E19rocblas_complex_numIfEPKS1_PKS3_PKPS1_EvimT2_lT3_lllT4_llli.uses_vcc, 1
	.set _ZL18rocblas_syr_kernelILb1ELi1024E19rocblas_complex_numIfEPKS1_PKS3_PKPS1_EvimT2_lT3_lllT4_llli.uses_flat_scratch, 0
	.set _ZL18rocblas_syr_kernelILb1ELi1024E19rocblas_complex_numIfEPKS1_PKS3_PKPS1_EvimT2_lT3_lllT4_llli.has_dyn_sized_stack, 0
	.set _ZL18rocblas_syr_kernelILb1ELi1024E19rocblas_complex_numIfEPKS1_PKS3_PKPS1_EvimT2_lT3_lllT4_llli.has_recursion, 0
	.set _ZL18rocblas_syr_kernelILb1ELi1024E19rocblas_complex_numIfEPKS1_PKS3_PKPS1_EvimT2_lT3_lllT4_llli.has_indirect_call, 0
	.section	.AMDGPU.csdata,"",@progbits
; Kernel info:
; codeLenInByte = 808
; TotalNumSgprs: 32
; NumVgprs: 18
; ScratchSize: 0
; MemoryBound: 0
; FloatMode: 240
; IeeeMode: 1
; LDSByteSize: 0 bytes/workgroup (compile time only)
; SGPRBlocks: 0
; VGPRBlocks: 1
; NumSGPRsForWavesPerEU: 32
; NumVGPRsForWavesPerEU: 18
; NamedBarCnt: 0
; Occupancy: 16
; WaveLimiterHint : 1
; COMPUTE_PGM_RSRC2:SCRATCH_EN: 0
; COMPUTE_PGM_RSRC2:USER_SGPR: 2
; COMPUTE_PGM_RSRC2:TRAP_HANDLER: 0
; COMPUTE_PGM_RSRC2:TGID_X_EN: 1
; COMPUTE_PGM_RSRC2:TGID_Y_EN: 0
; COMPUTE_PGM_RSRC2:TGID_Z_EN: 1
; COMPUTE_PGM_RSRC2:TIDIG_COMP_CNT: 0
	.section	.text._ZL23rocblas_syr_kernel_inc1ILb0ELi1024E19rocblas_complex_numIfEPKS1_PKS3_PKPS1_EvimT2_lT3_llT4_llli,"axG",@progbits,_ZL23rocblas_syr_kernel_inc1ILb0ELi1024E19rocblas_complex_numIfEPKS1_PKS3_PKPS1_EvimT2_lT3_llT4_llli,comdat
	.globl	_ZL23rocblas_syr_kernel_inc1ILb0ELi1024E19rocblas_complex_numIfEPKS1_PKS3_PKPS1_EvimT2_lT3_llT4_llli ; -- Begin function _ZL23rocblas_syr_kernel_inc1ILb0ELi1024E19rocblas_complex_numIfEPKS1_PKS3_PKPS1_EvimT2_lT3_llT4_llli
	.p2align	8
	.type	_ZL23rocblas_syr_kernel_inc1ILb0ELi1024E19rocblas_complex_numIfEPKS1_PKS3_PKPS1_EvimT2_lT3_llT4_llli,@function
_ZL23rocblas_syr_kernel_inc1ILb0ELi1024E19rocblas_complex_numIfEPKS1_PKS3_PKPS1_EvimT2_lT3_llT4_llli: ; @_ZL23rocblas_syr_kernel_inc1ILb0ELi1024E19rocblas_complex_numIfEPKS1_PKS3_PKPS1_EvimT2_lT3_llT4_llli
; %bb.0:
	s_load_b32 s22, s[0:1], 0x58
	s_bfe_u32 s2, ttmp6, 0x40014
	s_lshr_b32 s3, ttmp7, 16
	s_add_co_i32 s2, s2, 1
	s_bfe_u32 s4, ttmp6, 0x40008
	s_mul_i32 s2, s3, s2
	s_getreg_b32 s20, hwreg(HW_REG_IB_STS2, 6, 4)
	s_add_co_i32 s4, s4, s2
	s_cmp_eq_u32 s20, 0
	s_cselect_b32 s2, s3, s4
	s_mov_b32 s3, 0
	s_wait_kmcnt 0x0
	s_cmp_ge_u32 s2, s22
	s_cbranch_scc1 .LBB50_7
; %bb.1:
	s_clause 0x4
	s_load_b32 s16, s[0:1], 0x0
	s_load_b128 s[12:15], s[0:1], 0x38
	s_load_b64 s[26:27], s[0:1], 0x28
	s_load_b256 s[4:11], s[0:1], 0x8
	s_load_b64 s[18:19], s[0:1], 0x48
	s_bfe_u32 s17, ttmp6, 0x4000c
	s_and_b32 s21, ttmp6, 15
	s_add_co_i32 s17, s17, 1
	v_mov_b32_e32 v1, 0
	s_mul_i32 s17, ttmp9, s17
	s_wait_xcnt 0x0
	s_add_nc_u64 s[0:1], s[0:1], 0x60
	s_add_co_i32 s21, s21, s17
	s_wait_kmcnt 0x0
	s_ashr_i32 s17, s16, 31
	s_cmp_eq_u32 s20, 0
	s_cselect_b32 s23, ttmp9, s21
	s_add_co_i32 s24, s16, -1
	s_lshl_b64 s[14:15], s[14:15], 3
	s_lshl_b64 s[20:21], s[26:27], 3
	s_branch .LBB50_4
.LBB50_2:                               ;   in Loop: Header=BB50_4 Depth=1
	s_wait_xcnt 0x0
	s_or_b32 exec_lo, exec_lo, s25
.LBB50_3:                               ;   in Loop: Header=BB50_4 Depth=1
	s_add_co_i32 s2, s2, 0x10000
	s_delay_alu instid0(SALU_CYCLE_1)
	s_cmp_lt_u32 s2, s22
	s_cbranch_scc0 .LBB50_7
.LBB50_4:                               ; =>This Inner Loop Header: Depth=1
	s_wait_xcnt 0x0
	s_mul_u64 s[26:27], s[8:9], s[2:3]
	s_delay_alu instid0(SALU_CYCLE_1) | instskip(NEXT) | instid1(SALU_CYCLE_1)
	s_lshl_b64 s[26:27], s[26:27], 3
	s_add_nc_u64 s[26:27], s[6:7], s[26:27]
	global_load_b64 v[2:3], v1, s[26:27]
	s_wait_loadcnt 0x0
	v_or_b32_e32 v4, v2, v3
	s_delay_alu instid0(VALU_DEP_1) | instskip(NEXT) | instid1(VALU_DEP_1)
	v_and_b32_e32 v4, 0x7fffffff, v4
	v_cmp_eq_u32_e32 vcc_lo, 0, v4
	s_cbranch_vccnz .LBB50_3
; %bb.5:                                ;   in Loop: Header=BB50_4 Depth=1
	s_load_b32 s25, s[0:1], 0xc
	s_wait_kmcnt 0x0
	s_and_b32 s25, s25, 0xffff
	s_delay_alu instid0(SALU_CYCLE_1) | instskip(SKIP_1) | instid1(VALU_DEP_1)
	v_mad_nc_u64_u32 v[4:5], s25, s23, v[0:1]
	s_mov_b32 s25, exec_lo
	v_cmpx_gt_u64_e64 s[4:5], v[4:5]
	s_cbranch_execz .LBB50_2
; %bb.6:                                ;   in Loop: Header=BB50_4 Depth=1
	v_not_b32_e32 v5, v5
	v_not_b32_e32 v4, v4
	s_lshl_b64 s[26:27], s[2:3], 3
	s_delay_alu instid0(SALU_CYCLE_1) | instskip(SKIP_1) | instid1(VALU_DEP_1)
	s_add_nc_u64 s[28:29], s[10:11], s[26:27]
	s_add_nc_u64 s[26:27], s[12:13], s[26:27]
	v_add_nc_u64_e32 v[4:5], s[4:5], v[4:5]
	s_clause 0x1
	global_load_b64 v[14:15], v1, s[28:29]
	global_load_b64 v[16:17], v1, s[26:27]
	v_lshlrev_b64_e32 v[6:7], 3, v[4:5]
	v_sub_nc_u32_e32 v4, s24, v4
	s_delay_alu instid0(VALU_DEP_2) | instskip(NEXT) | instid1(VALU_DEP_3)
	v_cvt_f64_u32_e32 v[8:9], v7
	v_or_b32_e32 v5, 1, v6
	s_delay_alu instid0(VALU_DEP_1) | instskip(NEXT) | instid1(VALU_DEP_3)
	v_cvt_f64_u32_e32 v[6:7], v5
	v_ldexp_f64 v[8:9], v[8:9], 32
	s_delay_alu instid0(VALU_DEP_1) | instskip(NEXT) | instid1(VALU_DEP_1)
	v_add_f64_e32 v[6:7], v[8:9], v[6:7]
	v_cmp_gt_f64_e32 vcc_lo, 0x10000000, v[6:7]
	v_cndmask_b32_e64 v5, 0, 0x100, vcc_lo
	s_delay_alu instid0(VALU_DEP_1) | instskip(SKIP_1) | instid1(VALU_DEP_2)
	v_ldexp_f64 v[6:7], v[6:7], v5
	v_cndmask_b32_e64 v5, 0, 0xffffff80, vcc_lo
	v_rsq_f64_e32 v[8:9], v[6:7]
	v_cmp_class_f64_e64 vcc_lo, v[6:7], 0x260
	s_delay_alu instid0(TRANS32_DEP_1) | instskip(SKIP_1) | instid1(VALU_DEP_1)
	v_mul_f64_e32 v[10:11], v[6:7], v[8:9]
	v_mul_f64_e32 v[8:9], 0.5, v[8:9]
	v_fma_f64 v[12:13], -v[8:9], v[10:11], 0.5
	s_delay_alu instid0(VALU_DEP_1) | instskip(SKIP_1) | instid1(VALU_DEP_2)
	v_fmac_f64_e32 v[10:11], v[10:11], v[12:13]
	v_fmac_f64_e32 v[8:9], v[8:9], v[12:13]
	v_fma_f64 v[12:13], -v[10:11], v[10:11], v[6:7]
	s_delay_alu instid0(VALU_DEP_1) | instskip(NEXT) | instid1(VALU_DEP_1)
	v_fmac_f64_e32 v[10:11], v[12:13], v[8:9]
	v_fma_f64 v[12:13], -v[10:11], v[10:11], v[6:7]
	s_delay_alu instid0(VALU_DEP_1) | instskip(NEXT) | instid1(VALU_DEP_1)
	v_fmac_f64_e32 v[10:11], v[12:13], v[8:9]
	v_ldexp_f64 v[8:9], v[10:11], v5
	s_wait_loadcnt 0x1
	v_add_nc_u64_e32 v[10:11], s[20:21], v[14:15]
	s_wait_xcnt 0x0
	s_delay_alu instid0(VALU_DEP_1) | instskip(NEXT) | instid1(VALU_DEP_2)
	v_readfirstlane_b32 s26, v10
	v_readfirstlane_b32 s27, v11
	s_delay_alu instid0(VALU_DEP_4) | instskip(NEXT) | instid1(VALU_DEP_1)
	v_dual_cndmask_b32 v7, v9, v7 :: v_dual_cndmask_b32 v6, v8, v6
	v_add_f64_e32 v[6:7], -1.0, v[6:7]
	s_delay_alu instid0(VALU_DEP_1) | instskip(NEXT) | instid1(VALU_DEP_1)
	v_mul_f64_e32 v[6:7], 0.5, v[6:7]
	v_cvt_i32_f64_e32 v6, v[6:7]
	s_delay_alu instid0(VALU_DEP_1) | instskip(NEXT) | instid1(VALU_DEP_1)
	v_mad_u32 v5, v6, v6, v6
	v_dual_sub_nc_u32 v8, s24, v6 :: v_dual_lshrrev_b32 v7, 31, v5
	s_delay_alu instid0(VALU_DEP_1) | instskip(NEXT) | instid1(VALU_DEP_1)
	v_dual_add_nc_u32 v5, v5, v7 :: v_dual_ashrrev_i32 v7, 31, v6
	v_dual_ashrrev_i32 v9, 31, v8 :: v_dual_ashrrev_i32 v5, 1, v5
	s_delay_alu instid0(VALU_DEP_2) | instskip(NEXT) | instid1(VALU_DEP_2)
	v_sub_nc_u64_e32 v[6:7], s[16:17], v[6:7]
	v_mul_u64_e32 v[8:9], s[18:19], v[8:9]
	s_delay_alu instid0(VALU_DEP_3) | instskip(NEXT) | instid1(VALU_DEP_3)
	v_add_nc_u32_e32 v4, v4, v5
	v_lshl_add_u64 v[6:7], v[6:7], 3, v[10:11]
	s_wait_loadcnt 0x0
	v_add_nc_u64_e32 v[10:11], s[14:15], v[16:17]
	s_clause 0x1
	flat_load_b64 v[12:13], v4, s[26:27] scale_offset
	flat_load_b64 v[6:7], v[6:7] offset:-8
	v_lshl_add_u64 v[8:9], v[8:9], 3, v[10:11]
	s_wait_loadcnt_dscnt 0x101
	v_pk_mul_f32 v[10:11], v[12:13], v[2:3] op_sel:[0,1] op_sel_hi:[1,0]
	v_ashrrev_i32_e32 v5, 31, v4
	v_pk_mul_f32 v[2:3], v[12:13], v[2:3]
	s_delay_alu instid0(VALU_DEP_3) | instskip(SKIP_1) | instid1(VALU_DEP_3)
	v_add_f32_e32 v10, v10, v11
	s_wait_xcnt 0x1
	v_lshl_add_u64 v[4:5], v[4:5], 3, v[8:9]
	s_delay_alu instid0(VALU_DEP_3)
	v_pk_add_f32 v[2:3], v[2:3], v[2:3] op_sel:[0,1] op_sel_hi:[0,1] neg_lo:[0,1] neg_hi:[0,1]
	s_wait_loadcnt_dscnt 0x0
	v_pk_mul_f32 v[10:11], v[6:7], v[10:11] op_sel:[1,0] op_sel_hi:[0,0]
	flat_load_b64 v[8:9], v[4:5]
	v_pk_fma_f32 v[12:13], v[6:7], v[2:3], v[10:11]
	v_pk_fma_f32 v[2:3], v[6:7], v[2:3], v[10:11] neg_lo:[0,0,1] neg_hi:[0,0,1]
	s_delay_alu instid0(VALU_DEP_2) | instskip(SKIP_1) | instid1(VALU_DEP_1)
	v_mov_b32_e32 v3, v13
	s_wait_loadcnt_dscnt 0x0
	v_pk_add_f32 v[2:3], v[8:9], v[2:3]
	flat_store_b64 v[4:5], v[2:3]
	s_branch .LBB50_2
.LBB50_7:
	s_endpgm
	.section	.rodata,"a",@progbits
	.p2align	6, 0x0
	.amdhsa_kernel _ZL23rocblas_syr_kernel_inc1ILb0ELi1024E19rocblas_complex_numIfEPKS1_PKS3_PKPS1_EvimT2_lT3_llT4_llli
		.amdhsa_group_segment_fixed_size 0
		.amdhsa_private_segment_fixed_size 0
		.amdhsa_kernarg_size 352
		.amdhsa_user_sgpr_count 2
		.amdhsa_user_sgpr_dispatch_ptr 0
		.amdhsa_user_sgpr_queue_ptr 0
		.amdhsa_user_sgpr_kernarg_segment_ptr 1
		.amdhsa_user_sgpr_dispatch_id 0
		.amdhsa_user_sgpr_kernarg_preload_length 0
		.amdhsa_user_sgpr_kernarg_preload_offset 0
		.amdhsa_user_sgpr_private_segment_size 0
		.amdhsa_wavefront_size32 1
		.amdhsa_uses_dynamic_stack 0
		.amdhsa_enable_private_segment 0
		.amdhsa_system_sgpr_workgroup_id_x 1
		.amdhsa_system_sgpr_workgroup_id_y 0
		.amdhsa_system_sgpr_workgroup_id_z 1
		.amdhsa_system_sgpr_workgroup_info 0
		.amdhsa_system_vgpr_workitem_id 0
		.amdhsa_next_free_vgpr 18
		.amdhsa_next_free_sgpr 30
		.amdhsa_named_barrier_count 0
		.amdhsa_reserve_vcc 1
		.amdhsa_float_round_mode_32 0
		.amdhsa_float_round_mode_16_64 0
		.amdhsa_float_denorm_mode_32 3
		.amdhsa_float_denorm_mode_16_64 3
		.amdhsa_fp16_overflow 0
		.amdhsa_memory_ordered 1
		.amdhsa_forward_progress 1
		.amdhsa_inst_pref_size 7
		.amdhsa_round_robin_scheduling 0
		.amdhsa_exception_fp_ieee_invalid_op 0
		.amdhsa_exception_fp_denorm_src 0
		.amdhsa_exception_fp_ieee_div_zero 0
		.amdhsa_exception_fp_ieee_overflow 0
		.amdhsa_exception_fp_ieee_underflow 0
		.amdhsa_exception_fp_ieee_inexact 0
		.amdhsa_exception_int_div_zero 0
	.end_amdhsa_kernel
	.section	.text._ZL23rocblas_syr_kernel_inc1ILb0ELi1024E19rocblas_complex_numIfEPKS1_PKS3_PKPS1_EvimT2_lT3_llT4_llli,"axG",@progbits,_ZL23rocblas_syr_kernel_inc1ILb0ELi1024E19rocblas_complex_numIfEPKS1_PKS3_PKPS1_EvimT2_lT3_llT4_llli,comdat
.Lfunc_end50:
	.size	_ZL23rocblas_syr_kernel_inc1ILb0ELi1024E19rocblas_complex_numIfEPKS1_PKS3_PKPS1_EvimT2_lT3_llT4_llli, .Lfunc_end50-_ZL23rocblas_syr_kernel_inc1ILb0ELi1024E19rocblas_complex_numIfEPKS1_PKS3_PKPS1_EvimT2_lT3_llT4_llli
                                        ; -- End function
	.set _ZL23rocblas_syr_kernel_inc1ILb0ELi1024E19rocblas_complex_numIfEPKS1_PKS3_PKPS1_EvimT2_lT3_llT4_llli.num_vgpr, 18
	.set _ZL23rocblas_syr_kernel_inc1ILb0ELi1024E19rocblas_complex_numIfEPKS1_PKS3_PKPS1_EvimT2_lT3_llT4_llli.num_agpr, 0
	.set _ZL23rocblas_syr_kernel_inc1ILb0ELi1024E19rocblas_complex_numIfEPKS1_PKS3_PKPS1_EvimT2_lT3_llT4_llli.numbered_sgpr, 30
	.set _ZL23rocblas_syr_kernel_inc1ILb0ELi1024E19rocblas_complex_numIfEPKS1_PKS3_PKPS1_EvimT2_lT3_llT4_llli.num_named_barrier, 0
	.set _ZL23rocblas_syr_kernel_inc1ILb0ELi1024E19rocblas_complex_numIfEPKS1_PKS3_PKPS1_EvimT2_lT3_llT4_llli.private_seg_size, 0
	.set _ZL23rocblas_syr_kernel_inc1ILb0ELi1024E19rocblas_complex_numIfEPKS1_PKS3_PKPS1_EvimT2_lT3_llT4_llli.uses_vcc, 1
	.set _ZL23rocblas_syr_kernel_inc1ILb0ELi1024E19rocblas_complex_numIfEPKS1_PKS3_PKPS1_EvimT2_lT3_llT4_llli.uses_flat_scratch, 1
	.set _ZL23rocblas_syr_kernel_inc1ILb0ELi1024E19rocblas_complex_numIfEPKS1_PKS3_PKPS1_EvimT2_lT3_llT4_llli.has_dyn_sized_stack, 0
	.set _ZL23rocblas_syr_kernel_inc1ILb0ELi1024E19rocblas_complex_numIfEPKS1_PKS3_PKPS1_EvimT2_lT3_llT4_llli.has_recursion, 0
	.set _ZL23rocblas_syr_kernel_inc1ILb0ELi1024E19rocblas_complex_numIfEPKS1_PKS3_PKPS1_EvimT2_lT3_llT4_llli.has_indirect_call, 0
	.section	.AMDGPU.csdata,"",@progbits
; Kernel info:
; codeLenInByte = 864
; TotalNumSgprs: 32
; NumVgprs: 18
; ScratchSize: 0
; MemoryBound: 0
; FloatMode: 240
; IeeeMode: 1
; LDSByteSize: 0 bytes/workgroup (compile time only)
; SGPRBlocks: 0
; VGPRBlocks: 1
; NumSGPRsForWavesPerEU: 32
; NumVGPRsForWavesPerEU: 18
; NamedBarCnt: 0
; Occupancy: 16
; WaveLimiterHint : 1
; COMPUTE_PGM_RSRC2:SCRATCH_EN: 0
; COMPUTE_PGM_RSRC2:USER_SGPR: 2
; COMPUTE_PGM_RSRC2:TRAP_HANDLER: 0
; COMPUTE_PGM_RSRC2:TGID_X_EN: 1
; COMPUTE_PGM_RSRC2:TGID_Y_EN: 0
; COMPUTE_PGM_RSRC2:TGID_Z_EN: 1
; COMPUTE_PGM_RSRC2:TIDIG_COMP_CNT: 0
	.section	.text._ZL18rocblas_syr_kernelILb0ELi1024E19rocblas_complex_numIfEPKS1_PKS3_PKPS1_EvimT2_lT3_lllT4_llli,"axG",@progbits,_ZL18rocblas_syr_kernelILb0ELi1024E19rocblas_complex_numIfEPKS1_PKS3_PKPS1_EvimT2_lT3_lllT4_llli,comdat
	.globl	_ZL18rocblas_syr_kernelILb0ELi1024E19rocblas_complex_numIfEPKS1_PKS3_PKPS1_EvimT2_lT3_lllT4_llli ; -- Begin function _ZL18rocblas_syr_kernelILb0ELi1024E19rocblas_complex_numIfEPKS1_PKS3_PKPS1_EvimT2_lT3_lllT4_llli
	.p2align	8
	.type	_ZL18rocblas_syr_kernelILb0ELi1024E19rocblas_complex_numIfEPKS1_PKS3_PKPS1_EvimT2_lT3_lllT4_llli,@function
_ZL18rocblas_syr_kernelILb0ELi1024E19rocblas_complex_numIfEPKS1_PKS3_PKPS1_EvimT2_lT3_lllT4_llli: ; @_ZL18rocblas_syr_kernelILb0ELi1024E19rocblas_complex_numIfEPKS1_PKS3_PKPS1_EvimT2_lT3_lllT4_llli
; %bb.0:
	s_load_b32 s22, s[0:1], 0x60
	s_bfe_u32 s2, ttmp6, 0x40014
	s_lshr_b32 s3, ttmp7, 16
	s_add_co_i32 s2, s2, 1
	s_bfe_u32 s4, ttmp6, 0x40008
	s_mul_i32 s2, s3, s2
	s_getreg_b32 s23, hwreg(HW_REG_IB_STS2, 6, 4)
	s_add_co_i32 s4, s4, s2
	s_cmp_eq_u32 s23, 0
	s_cselect_b32 s2, s3, s4
	s_mov_b32 s3, 0
	s_wait_kmcnt 0x0
	s_cmp_ge_u32 s2, s22
	s_cbranch_scc1 .LBB51_7
; %bb.1:
	s_clause 0x4
	s_load_b32 s24, s[0:1], 0x0
	s_load_b128 s[12:15], s[0:1], 0x40
	s_load_b128 s[16:19], s[0:1], 0x28
	s_load_b256 s[4:11], s[0:1], 0x8
	s_load_b64 s[20:21], s[0:1], 0x50
	s_bfe_u32 s25, ttmp6, 0x4000c
	s_and_b32 s26, ttmp6, 15
	s_add_co_i32 s25, s25, 1
	v_mov_b32_e32 v1, 0
	s_mul_i32 s25, ttmp9, s25
	s_wait_xcnt 0x0
	s_add_nc_u64 s[0:1], s[0:1], 0x68
	s_add_co_i32 s26, s26, s25
	s_cmp_eq_u32 s23, 0
	s_cselect_b32 s23, ttmp9, s26
	s_wait_kmcnt 0x0
	s_add_co_i32 s24, s24, -1
	s_lshl_b64 s[14:15], s[14:15], 3
	s_lshl_b64 s[16:17], s[16:17], 3
	s_branch .LBB51_4
.LBB51_2:                               ;   in Loop: Header=BB51_4 Depth=1
	s_wait_xcnt 0x0
	s_or_b32 exec_lo, exec_lo, s25
.LBB51_3:                               ;   in Loop: Header=BB51_4 Depth=1
	s_add_co_i32 s2, s2, 0x10000
	s_delay_alu instid0(SALU_CYCLE_1)
	s_cmp_lt_u32 s2, s22
	s_cbranch_scc0 .LBB51_7
.LBB51_4:                               ; =>This Inner Loop Header: Depth=1
	s_wait_xcnt 0x0
	s_mul_u64 s[26:27], s[8:9], s[2:3]
	s_delay_alu instid0(SALU_CYCLE_1) | instskip(NEXT) | instid1(SALU_CYCLE_1)
	s_lshl_b64 s[26:27], s[26:27], 3
	s_add_nc_u64 s[26:27], s[6:7], s[26:27]
	global_load_b64 v[2:3], v1, s[26:27]
	s_wait_loadcnt 0x0
	v_or_b32_e32 v4, v2, v3
	s_delay_alu instid0(VALU_DEP_1) | instskip(NEXT) | instid1(VALU_DEP_1)
	v_and_b32_e32 v4, 0x7fffffff, v4
	v_cmp_eq_u32_e32 vcc_lo, 0, v4
	s_cbranch_vccnz .LBB51_3
; %bb.5:                                ;   in Loop: Header=BB51_4 Depth=1
	s_load_b32 s25, s[0:1], 0xc
	s_wait_kmcnt 0x0
	s_and_b32 s25, s25, 0xffff
	s_delay_alu instid0(SALU_CYCLE_1) | instskip(SKIP_1) | instid1(VALU_DEP_1)
	v_mad_nc_u64_u32 v[4:5], s25, s23, v[0:1]
	s_mov_b32 s25, exec_lo
	v_cmpx_gt_u64_e64 s[4:5], v[4:5]
	s_cbranch_execz .LBB51_2
; %bb.6:                                ;   in Loop: Header=BB51_4 Depth=1
	v_not_b32_e32 v5, v5
	v_not_b32_e32 v4, v4
	s_lshl_b64 s[26:27], s[2:3], 3
	s_delay_alu instid0(SALU_CYCLE_1) | instskip(SKIP_1) | instid1(VALU_DEP_1)
	s_add_nc_u64 s[28:29], s[10:11], s[26:27]
	s_add_nc_u64 s[26:27], s[12:13], s[26:27]
	v_add_nc_u64_e32 v[4:5], s[4:5], v[4:5]
	s_clause 0x1
	global_load_b64 v[14:15], v1, s[28:29]
	global_load_b64 v[16:17], v1, s[26:27]
	v_lshlrev_b64_e32 v[6:7], 3, v[4:5]
	v_sub_nc_u32_e32 v4, s24, v4
	s_delay_alu instid0(VALU_DEP_2) | instskip(NEXT) | instid1(VALU_DEP_3)
	v_cvt_f64_u32_e32 v[8:9], v7
	v_or_b32_e32 v5, 1, v6
	s_delay_alu instid0(VALU_DEP_1) | instskip(NEXT) | instid1(VALU_DEP_3)
	v_cvt_f64_u32_e32 v[6:7], v5
	v_ldexp_f64 v[8:9], v[8:9], 32
	s_delay_alu instid0(VALU_DEP_1) | instskip(NEXT) | instid1(VALU_DEP_1)
	v_add_f64_e32 v[6:7], v[8:9], v[6:7]
	v_cmp_gt_f64_e32 vcc_lo, 0x10000000, v[6:7]
	v_cndmask_b32_e64 v5, 0, 0x100, vcc_lo
	s_delay_alu instid0(VALU_DEP_1) | instskip(SKIP_1) | instid1(VALU_DEP_2)
	v_ldexp_f64 v[6:7], v[6:7], v5
	v_cndmask_b32_e64 v5, 0, 0xffffff80, vcc_lo
	v_rsq_f64_e32 v[8:9], v[6:7]
	v_cmp_class_f64_e64 vcc_lo, v[6:7], 0x260
	s_delay_alu instid0(TRANS32_DEP_1) | instskip(SKIP_1) | instid1(VALU_DEP_1)
	v_mul_f64_e32 v[10:11], v[6:7], v[8:9]
	v_mul_f64_e32 v[8:9], 0.5, v[8:9]
	v_fma_f64 v[12:13], -v[8:9], v[10:11], 0.5
	s_delay_alu instid0(VALU_DEP_1) | instskip(SKIP_1) | instid1(VALU_DEP_2)
	v_fmac_f64_e32 v[10:11], v[10:11], v[12:13]
	v_fmac_f64_e32 v[8:9], v[8:9], v[12:13]
	v_fma_f64 v[12:13], -v[10:11], v[10:11], v[6:7]
	s_delay_alu instid0(VALU_DEP_1) | instskip(NEXT) | instid1(VALU_DEP_1)
	v_fmac_f64_e32 v[10:11], v[12:13], v[8:9]
	v_fma_f64 v[12:13], -v[10:11], v[10:11], v[6:7]
	s_delay_alu instid0(VALU_DEP_1) | instskip(SKIP_2) | instid1(VALU_DEP_2)
	v_fmac_f64_e32 v[10:11], v[12:13], v[8:9]
	s_wait_loadcnt 0x1
	v_add_nc_u64_e32 v[12:13], s[16:17], v[14:15]
	v_ldexp_f64 v[8:9], v[10:11], v5
	s_delay_alu instid0(VALU_DEP_1) | instskip(NEXT) | instid1(VALU_DEP_1)
	v_dual_cndmask_b32 v7, v9, v7 :: v_dual_cndmask_b32 v6, v8, v6
	v_add_f64_e32 v[6:7], -1.0, v[6:7]
	s_delay_alu instid0(VALU_DEP_1) | instskip(NEXT) | instid1(VALU_DEP_1)
	v_mul_f64_e32 v[6:7], 0.5, v[6:7]
	v_cvt_i32_f64_e32 v6, v[6:7]
	s_delay_alu instid0(VALU_DEP_1) | instskip(NEXT) | instid1(VALU_DEP_1)
	v_mad_u32 v5, v6, v6, v6
	v_dual_sub_nc_u32 v6, s24, v6 :: v_dual_lshrrev_b32 v7, 31, v5
	s_delay_alu instid0(VALU_DEP_1) | instskip(NEXT) | instid1(VALU_DEP_1)
	v_dual_add_nc_u32 v5, v5, v7 :: v_dual_ashrrev_i32 v7, 31, v6
	v_ashrrev_i32_e32 v5, 1, v5
	s_delay_alu instid0(VALU_DEP_2) | instskip(SKIP_1) | instid1(VALU_DEP_3)
	v_mul_u64_e32 v[10:11], s[18:19], v[6:7]
	v_mul_u64_e32 v[6:7], s[20:21], v[6:7]
	v_add_nc_u32_e32 v4, v4, v5
	s_delay_alu instid0(VALU_DEP_1) | instskip(NEXT) | instid1(VALU_DEP_1)
	v_ashrrev_i32_e32 v5, 31, v4
	v_mul_u64_e32 v[8:9], s[18:19], v[4:5]
	v_lshl_add_u64 v[10:11], v[10:11], 3, v[12:13]
	flat_load_b64 v[10:11], v[10:11]
	v_lshl_add_u64 v[8:9], v[8:9], 3, v[12:13]
	s_wait_loadcnt 0x1
	v_add_nc_u64_e32 v[12:13], s[14:15], v[16:17]
	flat_load_b64 v[8:9], v[8:9]
	v_lshl_add_u64 v[6:7], v[6:7], 3, v[12:13]
	s_delay_alu instid0(VALU_DEP_1) | instskip(SKIP_4) | instid1(VALU_DEP_2)
	v_lshl_add_u64 v[4:5], v[4:5], 3, v[6:7]
	flat_load_b64 v[6:7], v[4:5]
	s_wait_loadcnt_dscnt 0x101
	v_pk_mul_f32 v[12:13], v[8:9], v[2:3] op_sel:[0,1] op_sel_hi:[1,0]
	v_pk_mul_f32 v[2:3], v[8:9], v[2:3]
	v_add_f32_e32 v12, v12, v13
	s_delay_alu instid0(VALU_DEP_2) | instskip(SKIP_1) | instid1(VALU_DEP_2)
	v_pk_add_f32 v[2:3], v[2:3], v[2:3] op_sel:[0,1] op_sel_hi:[0,1] neg_lo:[0,1] neg_hi:[0,1]
	s_wait_xcnt 0x1
	v_pk_mul_f32 v[8:9], v[10:11], v[12:13] op_sel:[1,0] op_sel_hi:[0,0]
	s_delay_alu instid0(VALU_DEP_1) | instskip(SKIP_1) | instid1(VALU_DEP_2)
	v_pk_fma_f32 v[12:13], v[10:11], v[2:3], v[8:9]
	v_pk_fma_f32 v[2:3], v[10:11], v[2:3], v[8:9] neg_lo:[0,0,1] neg_hi:[0,0,1]
	v_mov_b32_e32 v3, v13
	s_wait_loadcnt_dscnt 0x0
	s_delay_alu instid0(VALU_DEP_1)
	v_pk_add_f32 v[2:3], v[6:7], v[2:3]
	flat_store_b64 v[4:5], v[2:3]
	s_branch .LBB51_2
.LBB51_7:
	s_endpgm
	.section	.rodata,"a",@progbits
	.p2align	6, 0x0
	.amdhsa_kernel _ZL18rocblas_syr_kernelILb0ELi1024E19rocblas_complex_numIfEPKS1_PKS3_PKPS1_EvimT2_lT3_lllT4_llli
		.amdhsa_group_segment_fixed_size 0
		.amdhsa_private_segment_fixed_size 0
		.amdhsa_kernarg_size 360
		.amdhsa_user_sgpr_count 2
		.amdhsa_user_sgpr_dispatch_ptr 0
		.amdhsa_user_sgpr_queue_ptr 0
		.amdhsa_user_sgpr_kernarg_segment_ptr 1
		.amdhsa_user_sgpr_dispatch_id 0
		.amdhsa_user_sgpr_kernarg_preload_length 0
		.amdhsa_user_sgpr_kernarg_preload_offset 0
		.amdhsa_user_sgpr_private_segment_size 0
		.amdhsa_wavefront_size32 1
		.amdhsa_uses_dynamic_stack 0
		.amdhsa_enable_private_segment 0
		.amdhsa_system_sgpr_workgroup_id_x 1
		.amdhsa_system_sgpr_workgroup_id_y 0
		.amdhsa_system_sgpr_workgroup_id_z 1
		.amdhsa_system_sgpr_workgroup_info 0
		.amdhsa_system_vgpr_workitem_id 0
		.amdhsa_next_free_vgpr 18
		.amdhsa_next_free_sgpr 30
		.amdhsa_named_barrier_count 0
		.amdhsa_reserve_vcc 1
		.amdhsa_float_round_mode_32 0
		.amdhsa_float_round_mode_16_64 0
		.amdhsa_float_denorm_mode_32 3
		.amdhsa_float_denorm_mode_16_64 3
		.amdhsa_fp16_overflow 0
		.amdhsa_memory_ordered 1
		.amdhsa_forward_progress 1
		.amdhsa_inst_pref_size 7
		.amdhsa_round_robin_scheduling 0
		.amdhsa_exception_fp_ieee_invalid_op 0
		.amdhsa_exception_fp_denorm_src 0
		.amdhsa_exception_fp_ieee_div_zero 0
		.amdhsa_exception_fp_ieee_overflow 0
		.amdhsa_exception_fp_ieee_underflow 0
		.amdhsa_exception_fp_ieee_inexact 0
		.amdhsa_exception_int_div_zero 0
	.end_amdhsa_kernel
	.section	.text._ZL18rocblas_syr_kernelILb0ELi1024E19rocblas_complex_numIfEPKS1_PKS3_PKPS1_EvimT2_lT3_lllT4_llli,"axG",@progbits,_ZL18rocblas_syr_kernelILb0ELi1024E19rocblas_complex_numIfEPKS1_PKS3_PKPS1_EvimT2_lT3_lllT4_llli,comdat
.Lfunc_end51:
	.size	_ZL18rocblas_syr_kernelILb0ELi1024E19rocblas_complex_numIfEPKS1_PKS3_PKPS1_EvimT2_lT3_lllT4_llli, .Lfunc_end51-_ZL18rocblas_syr_kernelILb0ELi1024E19rocblas_complex_numIfEPKS1_PKS3_PKPS1_EvimT2_lT3_lllT4_llli
                                        ; -- End function
	.set _ZL18rocblas_syr_kernelILb0ELi1024E19rocblas_complex_numIfEPKS1_PKS3_PKPS1_EvimT2_lT3_lllT4_llli.num_vgpr, 18
	.set _ZL18rocblas_syr_kernelILb0ELi1024E19rocblas_complex_numIfEPKS1_PKS3_PKPS1_EvimT2_lT3_lllT4_llli.num_agpr, 0
	.set _ZL18rocblas_syr_kernelILb0ELi1024E19rocblas_complex_numIfEPKS1_PKS3_PKPS1_EvimT2_lT3_lllT4_llli.numbered_sgpr, 30
	.set _ZL18rocblas_syr_kernelILb0ELi1024E19rocblas_complex_numIfEPKS1_PKS3_PKPS1_EvimT2_lT3_lllT4_llli.num_named_barrier, 0
	.set _ZL18rocblas_syr_kernelILb0ELi1024E19rocblas_complex_numIfEPKS1_PKS3_PKPS1_EvimT2_lT3_lllT4_llli.private_seg_size, 0
	.set _ZL18rocblas_syr_kernelILb0ELi1024E19rocblas_complex_numIfEPKS1_PKS3_PKPS1_EvimT2_lT3_lllT4_llli.uses_vcc, 1
	.set _ZL18rocblas_syr_kernelILb0ELi1024E19rocblas_complex_numIfEPKS1_PKS3_PKPS1_EvimT2_lT3_lllT4_llli.uses_flat_scratch, 0
	.set _ZL18rocblas_syr_kernelILb0ELi1024E19rocblas_complex_numIfEPKS1_PKS3_PKPS1_EvimT2_lT3_lllT4_llli.has_dyn_sized_stack, 0
	.set _ZL18rocblas_syr_kernelILb0ELi1024E19rocblas_complex_numIfEPKS1_PKS3_PKPS1_EvimT2_lT3_lllT4_llli.has_recursion, 0
	.set _ZL18rocblas_syr_kernelILb0ELi1024E19rocblas_complex_numIfEPKS1_PKS3_PKPS1_EvimT2_lT3_lllT4_llli.has_indirect_call, 0
	.section	.AMDGPU.csdata,"",@progbits
; Kernel info:
; codeLenInByte = 844
; TotalNumSgprs: 32
; NumVgprs: 18
; ScratchSize: 0
; MemoryBound: 0
; FloatMode: 240
; IeeeMode: 1
; LDSByteSize: 0 bytes/workgroup (compile time only)
; SGPRBlocks: 0
; VGPRBlocks: 1
; NumSGPRsForWavesPerEU: 32
; NumVGPRsForWavesPerEU: 18
; NamedBarCnt: 0
; Occupancy: 16
; WaveLimiterHint : 1
; COMPUTE_PGM_RSRC2:SCRATCH_EN: 0
; COMPUTE_PGM_RSRC2:USER_SGPR: 2
; COMPUTE_PGM_RSRC2:TRAP_HANDLER: 0
; COMPUTE_PGM_RSRC2:TGID_X_EN: 1
; COMPUTE_PGM_RSRC2:TGID_Y_EN: 0
; COMPUTE_PGM_RSRC2:TGID_Z_EN: 1
; COMPUTE_PGM_RSRC2:TIDIG_COMP_CNT: 0
	.section	.text._ZL23rocblas_syr_kernel_inc1ILb1ELi1024E19rocblas_complex_numIfES1_PKPKS1_PKPS1_EvimT2_lT3_llT4_llli,"axG",@progbits,_ZL23rocblas_syr_kernel_inc1ILb1ELi1024E19rocblas_complex_numIfES1_PKPKS1_PKPS1_EvimT2_lT3_llT4_llli,comdat
	.globl	_ZL23rocblas_syr_kernel_inc1ILb1ELi1024E19rocblas_complex_numIfES1_PKPKS1_PKPS1_EvimT2_lT3_llT4_llli ; -- Begin function _ZL23rocblas_syr_kernel_inc1ILb1ELi1024E19rocblas_complex_numIfES1_PKPKS1_PKPS1_EvimT2_lT3_llT4_llli
	.p2align	8
	.type	_ZL23rocblas_syr_kernel_inc1ILb1ELi1024E19rocblas_complex_numIfES1_PKPKS1_PKPS1_EvimT2_lT3_llT4_llli,@function
_ZL23rocblas_syr_kernel_inc1ILb1ELi1024E19rocblas_complex_numIfES1_PKPKS1_PKPS1_EvimT2_lT3_llT4_llli: ; @_ZL23rocblas_syr_kernel_inc1ILb1ELi1024E19rocblas_complex_numIfES1_PKPKS1_PKPS1_EvimT2_lT3_llT4_llli
; %bb.0:
	s_load_b32 s18, s[0:1], 0x58
	s_bfe_u32 s2, ttmp6, 0x40014
	s_lshr_b32 s3, ttmp7, 16
	s_add_co_i32 s2, s2, 1
	s_bfe_u32 s4, ttmp6, 0x40008
	s_mul_i32 s2, s3, s2
	s_getreg_b32 s21, hwreg(HW_REG_IB_STS2, 6, 4)
	s_add_co_i32 s4, s4, s2
	s_cmp_eq_u32 s21, 0
	s_cselect_b32 s19, s3, s4
	s_wait_kmcnt 0x0
	s_cmp_ge_u32 s19, s18
	s_cbranch_scc1 .LBB52_7
; %bb.1:
	s_clause 0x3
	s_load_b128 s[4:7], s[0:1], 0x8
	s_load_b128 s[8:11], s[0:1], 0x38
	;; [unrolled: 1-line block ×3, first 2 shown]
	s_load_b64 s[2:3], s[0:1], 0x48
	v_mov_b32_e32 v1, 0
	s_wait_xcnt 0x0
	s_add_nc_u64 s[0:1], s[0:1], 0x60
	s_wait_kmcnt 0x0
	s_or_b32 s16, s6, s7
	s_delay_alu instid0(SALU_CYCLE_1) | instskip(NEXT) | instid1(SALU_CYCLE_1)
	s_bitset0_b32 s16, 31
	s_cmp_lg_u32 s16, 0
	s_mov_b32 s16, s7
	s_cselect_b32 s20, -1, 0
	s_bfe_u32 s17, ttmp6, 0x4000c
	s_and_b32 s22, ttmp6, 15
	s_add_co_i32 s17, s17, 1
	s_delay_alu instid0(SALU_CYCLE_1)
	s_mul_i32 s23, ttmp9, s17
	s_mov_b32 s17, s6
	s_add_co_i32 s22, s22, s23
	s_cmp_eq_u32 s21, 0
	s_cselect_b32 s21, ttmp9, s22
	s_lshl_b64 s[10:11], s[10:11], 3
	s_lshl_b64 s[14:15], s[14:15], 3
	s_branch .LBB52_4
.LBB52_2:                               ;   in Loop: Header=BB52_4 Depth=1
	s_wait_xcnt 0x0
	s_or_b32 exec_lo, exec_lo, s22
.LBB52_3:                               ;   in Loop: Header=BB52_4 Depth=1
	s_add_co_i32 s19, s19, 0x10000
	s_delay_alu instid0(SALU_CYCLE_1)
	s_cmp_lt_u32 s19, s18
	s_cbranch_scc0 .LBB52_7
.LBB52_4:                               ; =>This Inner Loop Header: Depth=1
	s_and_not1_b32 vcc_lo, exec_lo, s20
	s_cbranch_vccnz .LBB52_3
; %bb.5:                                ;   in Loop: Header=BB52_4 Depth=1
	s_load_b32 s22, s[0:1], 0xc
	s_wait_kmcnt 0x0
	s_and_b32 s22, s22, 0xffff
	s_delay_alu instid0(SALU_CYCLE_1) | instskip(SKIP_1) | instid1(VALU_DEP_1)
	v_mad_nc_u64_u32 v[2:3], s22, s21, v[0:1]
	s_mov_b32 s22, exec_lo
	v_cmpx_gt_u64_e64 s[4:5], v[2:3]
	s_cbranch_execz .LBB52_2
; %bb.6:                                ;   in Loop: Header=BB52_4 Depth=1
	v_lshlrev_b64_e32 v[4:5], 3, v[2:3]
	s_delay_alu instid0(VALU_DEP_1) | instskip(NEXT) | instid1(VALU_DEP_2)
	v_cvt_f64_u32_e32 v[6:7], v5
	v_or_b32_e32 v3, 1, v4
	s_delay_alu instid0(VALU_DEP_1) | instskip(NEXT) | instid1(VALU_DEP_3)
	v_cvt_f64_u32_e32 v[4:5], v3
	v_ldexp_f64 v[6:7], v[6:7], 32
	s_delay_alu instid0(VALU_DEP_1) | instskip(NEXT) | instid1(VALU_DEP_1)
	v_add_f64_e32 v[4:5], v[6:7], v[4:5]
	v_cmp_gt_f64_e32 vcc_lo, 0x10000000, v[4:5]
	v_cndmask_b32_e64 v3, 0, 0x100, vcc_lo
	s_delay_alu instid0(VALU_DEP_1)
	v_ldexp_f64 v[4:5], v[4:5], v3
	v_mov_b32_e32 v3, s19
	s_clause 0x1
	global_load_b64 v[12:13], v3, s[12:13] scale_offset
	global_load_b64 v[14:15], v3, s[8:9] scale_offset
	s_wait_xcnt 0x0
	v_cndmask_b32_e64 v3, 0, 0xffffff80, vcc_lo
	v_rsq_f64_e32 v[6:7], v[4:5]
	v_cmp_class_f64_e64 vcc_lo, v[4:5], 0x260
	s_delay_alu instid0(TRANS32_DEP_1) | instskip(SKIP_1) | instid1(VALU_DEP_1)
	v_mul_f64_e32 v[8:9], v[4:5], v[6:7]
	v_mul_f64_e32 v[6:7], 0.5, v[6:7]
	v_fma_f64 v[10:11], -v[6:7], v[8:9], 0.5
	s_delay_alu instid0(VALU_DEP_1) | instskip(SKIP_1) | instid1(VALU_DEP_2)
	v_fmac_f64_e32 v[8:9], v[8:9], v[10:11]
	v_fmac_f64_e32 v[6:7], v[6:7], v[10:11]
	v_fma_f64 v[10:11], -v[8:9], v[8:9], v[4:5]
	s_delay_alu instid0(VALU_DEP_1) | instskip(NEXT) | instid1(VALU_DEP_1)
	v_fmac_f64_e32 v[8:9], v[10:11], v[6:7]
	v_fma_f64 v[10:11], -v[8:9], v[8:9], v[4:5]
	s_delay_alu instid0(VALU_DEP_1) | instskip(NEXT) | instid1(VALU_DEP_1)
	v_fmac_f64_e32 v[8:9], v[10:11], v[6:7]
	v_ldexp_f64 v[6:7], v[8:9], v3
	s_wait_loadcnt 0x0
	v_add_nc_u64_e32 v[10:11], s[10:11], v[14:15]
	s_delay_alu instid0(VALU_DEP_2) | instskip(NEXT) | instid1(VALU_DEP_1)
	v_dual_cndmask_b32 v5, v7, v5 :: v_dual_cndmask_b32 v4, v6, v4
	v_add_f64_e32 v[4:5], -1.0, v[4:5]
	s_delay_alu instid0(VALU_DEP_1) | instskip(NEXT) | instid1(VALU_DEP_1)
	v_mul_f64_e32 v[4:5], 0.5, v[4:5]
	v_cvt_i32_f64_e32 v4, v[4:5]
	s_delay_alu instid0(VALU_DEP_1) | instskip(SKIP_1) | instid1(VALU_DEP_1)
	v_mad_u32 v3, v4, v4, v4
	v_ashrrev_i32_e32 v5, 31, v4
	v_mul_u64_e32 v[6:7], s[2:3], v[4:5]
	s_delay_alu instid0(VALU_DEP_3) | instskip(NEXT) | instid1(VALU_DEP_1)
	v_lshrrev_b32_e32 v8, 31, v3
	v_add_nc_u32_e32 v3, v3, v8
	v_add_nc_u64_e32 v[8:9], s[14:15], v[12:13]
	v_mov_b64_e32 v[12:13], s[6:7]
	s_delay_alu instid0(VALU_DEP_3) | instskip(NEXT) | instid1(VALU_DEP_3)
	v_ashrrev_i32_e32 v3, 1, v3
	v_readfirstlane_b32 s24, v8
	s_delay_alu instid0(VALU_DEP_4) | instskip(NEXT) | instid1(VALU_DEP_3)
	v_readfirstlane_b32 s25, v9
	v_sub_nc_u32_e32 v2, v2, v3
	s_clause 0x1
	flat_load_b64 v[4:5], v4, s[24:25] scale_offset
	flat_load_b64 v[8:9], v2, s[24:25] scale_offset
	v_ashrrev_i32_e32 v3, 31, v2
	v_lshl_add_u64 v[6:7], v[6:7], 3, v[10:11]
	v_mov_b64_e32 v[10:11], s[16:17]
	s_wait_xcnt 0x0
	s_delay_alu instid0(VALU_DEP_2) | instskip(SKIP_4) | instid1(VALU_DEP_2)
	v_lshl_add_u64 v[2:3], v[2:3], 3, v[6:7]
	flat_load_b64 v[6:7], v[2:3]
	s_wait_loadcnt_dscnt 0x101
	v_pk_mul_f32 v[10:11], v[8:9], v[10:11]
	v_pk_mul_f32 v[8:9], v[8:9], v[12:13]
	v_add_f32_e32 v10, v10, v11
	s_delay_alu instid0(VALU_DEP_2) | instskip(NEXT) | instid1(VALU_DEP_2)
	v_pk_add_f32 v[8:9], v[8:9], v[8:9] op_sel:[0,1] op_sel_hi:[0,1] neg_lo:[0,1] neg_hi:[0,1]
	v_pk_mul_f32 v[10:11], v[4:5], v[10:11] op_sel:[1,0] op_sel_hi:[0,0]
	s_delay_alu instid0(VALU_DEP_1) | instskip(SKIP_1) | instid1(VALU_DEP_2)
	v_pk_fma_f32 v[12:13], v[4:5], v[8:9], v[10:11]
	v_pk_fma_f32 v[4:5], v[4:5], v[8:9], v[10:11] neg_lo:[0,0,1] neg_hi:[0,0,1]
	v_mov_b32_e32 v5, v13
	s_wait_loadcnt_dscnt 0x0
	s_delay_alu instid0(VALU_DEP_1)
	v_pk_add_f32 v[4:5], v[6:7], v[4:5]
	flat_store_b64 v[2:3], v[4:5]
	s_branch .LBB52_2
.LBB52_7:
	s_endpgm
	.section	.rodata,"a",@progbits
	.p2align	6, 0x0
	.amdhsa_kernel _ZL23rocblas_syr_kernel_inc1ILb1ELi1024E19rocblas_complex_numIfES1_PKPKS1_PKPS1_EvimT2_lT3_llT4_llli
		.amdhsa_group_segment_fixed_size 0
		.amdhsa_private_segment_fixed_size 0
		.amdhsa_kernarg_size 352
		.amdhsa_user_sgpr_count 2
		.amdhsa_user_sgpr_dispatch_ptr 0
		.amdhsa_user_sgpr_queue_ptr 0
		.amdhsa_user_sgpr_kernarg_segment_ptr 1
		.amdhsa_user_sgpr_dispatch_id 0
		.amdhsa_user_sgpr_kernarg_preload_length 0
		.amdhsa_user_sgpr_kernarg_preload_offset 0
		.amdhsa_user_sgpr_private_segment_size 0
		.amdhsa_wavefront_size32 1
		.amdhsa_uses_dynamic_stack 0
		.amdhsa_enable_private_segment 0
		.amdhsa_system_sgpr_workgroup_id_x 1
		.amdhsa_system_sgpr_workgroup_id_y 0
		.amdhsa_system_sgpr_workgroup_id_z 1
		.amdhsa_system_sgpr_workgroup_info 0
		.amdhsa_system_vgpr_workitem_id 0
		.amdhsa_next_free_vgpr 16
		.amdhsa_next_free_sgpr 26
		.amdhsa_named_barrier_count 0
		.amdhsa_reserve_vcc 1
		.amdhsa_float_round_mode_32 0
		.amdhsa_float_round_mode_16_64 0
		.amdhsa_float_denorm_mode_32 3
		.amdhsa_float_denorm_mode_16_64 3
		.amdhsa_fp16_overflow 0
		.amdhsa_memory_ordered 1
		.amdhsa_forward_progress 1
		.amdhsa_inst_pref_size 6
		.amdhsa_round_robin_scheduling 0
		.amdhsa_exception_fp_ieee_invalid_op 0
		.amdhsa_exception_fp_denorm_src 0
		.amdhsa_exception_fp_ieee_div_zero 0
		.amdhsa_exception_fp_ieee_overflow 0
		.amdhsa_exception_fp_ieee_underflow 0
		.amdhsa_exception_fp_ieee_inexact 0
		.amdhsa_exception_int_div_zero 0
	.end_amdhsa_kernel
	.section	.text._ZL23rocblas_syr_kernel_inc1ILb1ELi1024E19rocblas_complex_numIfES1_PKPKS1_PKPS1_EvimT2_lT3_llT4_llli,"axG",@progbits,_ZL23rocblas_syr_kernel_inc1ILb1ELi1024E19rocblas_complex_numIfES1_PKPKS1_PKPS1_EvimT2_lT3_llT4_llli,comdat
.Lfunc_end52:
	.size	_ZL23rocblas_syr_kernel_inc1ILb1ELi1024E19rocblas_complex_numIfES1_PKPKS1_PKPS1_EvimT2_lT3_llT4_llli, .Lfunc_end52-_ZL23rocblas_syr_kernel_inc1ILb1ELi1024E19rocblas_complex_numIfES1_PKPKS1_PKPS1_EvimT2_lT3_llT4_llli
                                        ; -- End function
	.set _ZL23rocblas_syr_kernel_inc1ILb1ELi1024E19rocblas_complex_numIfES1_PKPKS1_PKPS1_EvimT2_lT3_llT4_llli.num_vgpr, 16
	.set _ZL23rocblas_syr_kernel_inc1ILb1ELi1024E19rocblas_complex_numIfES1_PKPKS1_PKPS1_EvimT2_lT3_llT4_llli.num_agpr, 0
	.set _ZL23rocblas_syr_kernel_inc1ILb1ELi1024E19rocblas_complex_numIfES1_PKPKS1_PKPS1_EvimT2_lT3_llT4_llli.numbered_sgpr, 26
	.set _ZL23rocblas_syr_kernel_inc1ILb1ELi1024E19rocblas_complex_numIfES1_PKPKS1_PKPS1_EvimT2_lT3_llT4_llli.num_named_barrier, 0
	.set _ZL23rocblas_syr_kernel_inc1ILb1ELi1024E19rocblas_complex_numIfES1_PKPKS1_PKPS1_EvimT2_lT3_llT4_llli.private_seg_size, 0
	.set _ZL23rocblas_syr_kernel_inc1ILb1ELi1024E19rocblas_complex_numIfES1_PKPKS1_PKPS1_EvimT2_lT3_llT4_llli.uses_vcc, 1
	.set _ZL23rocblas_syr_kernel_inc1ILb1ELi1024E19rocblas_complex_numIfES1_PKPKS1_PKPS1_EvimT2_lT3_llT4_llli.uses_flat_scratch, 1
	.set _ZL23rocblas_syr_kernel_inc1ILb1ELi1024E19rocblas_complex_numIfES1_PKPKS1_PKPS1_EvimT2_lT3_llT4_llli.has_dyn_sized_stack, 0
	.set _ZL23rocblas_syr_kernel_inc1ILb1ELi1024E19rocblas_complex_numIfES1_PKPKS1_PKPS1_EvimT2_lT3_llT4_llli.has_recursion, 0
	.set _ZL23rocblas_syr_kernel_inc1ILb1ELi1024E19rocblas_complex_numIfES1_PKPKS1_PKPS1_EvimT2_lT3_llT4_llli.has_indirect_call, 0
	.section	.AMDGPU.csdata,"",@progbits
; Kernel info:
; codeLenInByte = 764
; TotalNumSgprs: 28
; NumVgprs: 16
; ScratchSize: 0
; MemoryBound: 0
; FloatMode: 240
; IeeeMode: 1
; LDSByteSize: 0 bytes/workgroup (compile time only)
; SGPRBlocks: 0
; VGPRBlocks: 0
; NumSGPRsForWavesPerEU: 28
; NumVGPRsForWavesPerEU: 16
; NamedBarCnt: 0
; Occupancy: 16
; WaveLimiterHint : 1
; COMPUTE_PGM_RSRC2:SCRATCH_EN: 0
; COMPUTE_PGM_RSRC2:USER_SGPR: 2
; COMPUTE_PGM_RSRC2:TRAP_HANDLER: 0
; COMPUTE_PGM_RSRC2:TGID_X_EN: 1
; COMPUTE_PGM_RSRC2:TGID_Y_EN: 0
; COMPUTE_PGM_RSRC2:TGID_Z_EN: 1
; COMPUTE_PGM_RSRC2:TIDIG_COMP_CNT: 0
	.section	.text._ZL18rocblas_syr_kernelILb1ELi1024E19rocblas_complex_numIfES1_PKPKS1_PKPS1_EvimT2_lT3_lllT4_llli,"axG",@progbits,_ZL18rocblas_syr_kernelILb1ELi1024E19rocblas_complex_numIfES1_PKPKS1_PKPS1_EvimT2_lT3_lllT4_llli,comdat
	.globl	_ZL18rocblas_syr_kernelILb1ELi1024E19rocblas_complex_numIfES1_PKPKS1_PKPS1_EvimT2_lT3_lllT4_llli ; -- Begin function _ZL18rocblas_syr_kernelILb1ELi1024E19rocblas_complex_numIfES1_PKPKS1_PKPS1_EvimT2_lT3_lllT4_llli
	.p2align	8
	.type	_ZL18rocblas_syr_kernelILb1ELi1024E19rocblas_complex_numIfES1_PKPKS1_PKPS1_EvimT2_lT3_lllT4_llli,@function
_ZL18rocblas_syr_kernelILb1ELi1024E19rocblas_complex_numIfES1_PKPKS1_PKPS1_EvimT2_lT3_lllT4_llli: ; @_ZL18rocblas_syr_kernelILb1ELi1024E19rocblas_complex_numIfES1_PKPKS1_PKPS1_EvimT2_lT3_lllT4_llli
; %bb.0:
	s_load_b32 s20, s[0:1], 0x60
	s_bfe_u32 s2, ttmp6, 0x40014
	s_lshr_b32 s3, ttmp7, 16
	s_add_co_i32 s2, s2, 1
	s_bfe_u32 s4, ttmp6, 0x40008
	s_mul_i32 s2, s3, s2
	s_getreg_b32 s23, hwreg(HW_REG_IB_STS2, 6, 4)
	s_add_co_i32 s4, s4, s2
	s_cmp_eq_u32 s23, 0
	s_cselect_b32 s21, s3, s4
	s_wait_kmcnt 0x0
	s_cmp_ge_u32 s21, s20
	s_cbranch_scc1 .LBB53_7
; %bb.1:
	s_clause 0x4
	s_load_b128 s[4:7], s[0:1], 0x8
	s_load_b64 s[2:3], s[0:1], 0x30
	s_load_b128 s[8:11], s[0:1], 0x40
	s_load_b128 s[12:15], s[0:1], 0x20
	s_load_b64 s[16:17], s[0:1], 0x50
	v_mov_b32_e32 v1, 0
	s_wait_xcnt 0x0
	s_add_nc_u64 s[0:1], s[0:1], 0x68
	s_wait_kmcnt 0x0
	s_or_b32 s18, s6, s7
	s_delay_alu instid0(SALU_CYCLE_1) | instskip(NEXT) | instid1(SALU_CYCLE_1)
	s_bitset0_b32 s18, 31
	s_cmp_lg_u32 s18, 0
	s_mov_b32 s18, s7
	s_cselect_b32 s22, -1, 0
	s_bfe_u32 s19, ttmp6, 0x4000c
	s_and_b32 s24, ttmp6, 15
	s_add_co_i32 s19, s19, 1
	s_delay_alu instid0(SALU_CYCLE_1)
	s_mul_i32 s25, ttmp9, s19
	s_mov_b32 s19, s6
	s_add_co_i32 s24, s24, s25
	s_cmp_eq_u32 s23, 0
	s_cselect_b32 s23, ttmp9, s24
	s_lshl_b64 s[10:11], s[10:11], 3
	s_lshl_b64 s[14:15], s[14:15], 3
	s_branch .LBB53_4
.LBB53_2:                               ;   in Loop: Header=BB53_4 Depth=1
	s_wait_xcnt 0x0
	s_or_b32 exec_lo, exec_lo, s24
.LBB53_3:                               ;   in Loop: Header=BB53_4 Depth=1
	s_add_co_i32 s21, s21, 0x10000
	s_delay_alu instid0(SALU_CYCLE_1)
	s_cmp_lt_u32 s21, s20
	s_cbranch_scc0 .LBB53_7
.LBB53_4:                               ; =>This Inner Loop Header: Depth=1
	s_and_not1_b32 vcc_lo, exec_lo, s22
	s_cbranch_vccnz .LBB53_3
; %bb.5:                                ;   in Loop: Header=BB53_4 Depth=1
	s_load_b32 s24, s[0:1], 0xc
	s_wait_kmcnt 0x0
	s_and_b32 s24, s24, 0xffff
	s_delay_alu instid0(SALU_CYCLE_1) | instskip(SKIP_1) | instid1(VALU_DEP_1)
	v_mad_nc_u64_u32 v[2:3], s24, s23, v[0:1]
	s_mov_b32 s24, exec_lo
	v_cmpx_gt_u64_e64 s[4:5], v[2:3]
	s_cbranch_execz .LBB53_2
; %bb.6:                                ;   in Loop: Header=BB53_4 Depth=1
	v_lshlrev_b64_e32 v[4:5], 3, v[2:3]
	s_delay_alu instid0(VALU_DEP_1) | instskip(NEXT) | instid1(VALU_DEP_2)
	v_cvt_f64_u32_e32 v[6:7], v5
	v_or_b32_e32 v3, 1, v4
	s_delay_alu instid0(VALU_DEP_1) | instskip(NEXT) | instid1(VALU_DEP_3)
	v_cvt_f64_u32_e32 v[4:5], v3
	v_ldexp_f64 v[6:7], v[6:7], 32
	s_delay_alu instid0(VALU_DEP_1) | instskip(NEXT) | instid1(VALU_DEP_1)
	v_add_f64_e32 v[4:5], v[6:7], v[4:5]
	v_cmp_gt_f64_e32 vcc_lo, 0x10000000, v[4:5]
	v_cndmask_b32_e64 v3, 0, 0x100, vcc_lo
	s_delay_alu instid0(VALU_DEP_1)
	v_ldexp_f64 v[4:5], v[4:5], v3
	v_mov_b32_e32 v3, s21
	s_clause 0x1
	global_load_b64 v[12:13], v3, s[12:13] scale_offset
	global_load_b64 v[14:15], v3, s[8:9] scale_offset
	s_wait_xcnt 0x0
	v_cndmask_b32_e64 v3, 0, 0xffffff80, vcc_lo
	v_rsq_f64_e32 v[6:7], v[4:5]
	v_cmp_class_f64_e64 vcc_lo, v[4:5], 0x260
	s_delay_alu instid0(TRANS32_DEP_1) | instskip(SKIP_1) | instid1(VALU_DEP_1)
	v_mul_f64_e32 v[8:9], v[4:5], v[6:7]
	v_mul_f64_e32 v[6:7], 0.5, v[6:7]
	v_fma_f64 v[10:11], -v[6:7], v[8:9], 0.5
	s_delay_alu instid0(VALU_DEP_1) | instskip(SKIP_1) | instid1(VALU_DEP_2)
	v_fmac_f64_e32 v[8:9], v[8:9], v[10:11]
	v_fmac_f64_e32 v[6:7], v[6:7], v[10:11]
	v_fma_f64 v[10:11], -v[8:9], v[8:9], v[4:5]
	s_delay_alu instid0(VALU_DEP_1) | instskip(NEXT) | instid1(VALU_DEP_1)
	v_fmac_f64_e32 v[8:9], v[10:11], v[6:7]
	v_fma_f64 v[10:11], -v[8:9], v[8:9], v[4:5]
	s_delay_alu instid0(VALU_DEP_1) | instskip(NEXT) | instid1(VALU_DEP_1)
	v_fmac_f64_e32 v[8:9], v[10:11], v[6:7]
	v_ldexp_f64 v[6:7], v[8:9], v3
	s_wait_loadcnt 0x1
	v_add_nc_u64_e32 v[10:11], s[14:15], v[12:13]
	v_mov_b64_e32 v[12:13], s[6:7]
	s_delay_alu instid0(VALU_DEP_3) | instskip(NEXT) | instid1(VALU_DEP_1)
	v_dual_cndmask_b32 v5, v7, v5 :: v_dual_cndmask_b32 v4, v6, v4
	v_add_f64_e32 v[4:5], -1.0, v[4:5]
	s_delay_alu instid0(VALU_DEP_1) | instskip(NEXT) | instid1(VALU_DEP_1)
	v_mul_f64_e32 v[4:5], 0.5, v[4:5]
	v_cvt_i32_f64_e32 v4, v[4:5]
	s_delay_alu instid0(VALU_DEP_1) | instskip(NEXT) | instid1(VALU_DEP_1)
	v_mad_u32 v3, v4, v4, v4
	v_lshrrev_b32_e32 v5, 31, v3
	s_delay_alu instid0(VALU_DEP_1) | instskip(NEXT) | instid1(VALU_DEP_1)
	v_dual_add_nc_u32 v3, v3, v5 :: v_dual_ashrrev_i32 v5, 31, v4
	v_ashrrev_i32_e32 v3, 1, v3
	s_delay_alu instid0(VALU_DEP_2) | instskip(SKIP_1) | instid1(VALU_DEP_3)
	v_mul_u64_e32 v[8:9], s[2:3], v[4:5]
	v_mul_u64_e32 v[4:5], s[16:17], v[4:5]
	v_sub_nc_u32_e32 v2, v2, v3
	s_delay_alu instid0(VALU_DEP_1) | instskip(NEXT) | instid1(VALU_DEP_1)
	v_ashrrev_i32_e32 v3, 31, v2
	v_mul_u64_e32 v[6:7], s[2:3], v[2:3]
	v_lshl_add_u64 v[8:9], v[8:9], 3, v[10:11]
	flat_load_b64 v[8:9], v[8:9]
	v_lshl_add_u64 v[6:7], v[6:7], 3, v[10:11]
	s_wait_loadcnt 0x1
	v_add_nc_u64_e32 v[10:11], s[10:11], v[14:15]
	flat_load_b64 v[6:7], v[6:7]
	v_lshl_add_u64 v[4:5], v[4:5], 3, v[10:11]
	v_mov_b64_e32 v[10:11], s[18:19]
	s_delay_alu instid0(VALU_DEP_2)
	v_lshl_add_u64 v[2:3], v[2:3], 3, v[4:5]
	flat_load_b64 v[4:5], v[2:3]
	s_wait_loadcnt_dscnt 0x101
	v_pk_mul_f32 v[10:11], v[6:7], v[10:11]
	s_wait_xcnt 0x1
	v_pk_mul_f32 v[6:7], v[6:7], v[12:13]
	s_delay_alu instid0(VALU_DEP_2) | instskip(NEXT) | instid1(VALU_DEP_2)
	v_add_f32_e32 v10, v10, v11
	v_pk_add_f32 v[6:7], v[6:7], v[6:7] op_sel:[0,1] op_sel_hi:[0,1] neg_lo:[0,1] neg_hi:[0,1]
	s_delay_alu instid0(VALU_DEP_2) | instskip(NEXT) | instid1(VALU_DEP_1)
	v_pk_mul_f32 v[10:11], v[8:9], v[10:11] op_sel:[1,0] op_sel_hi:[0,0]
	v_pk_fma_f32 v[12:13], v[8:9], v[6:7], v[10:11]
	v_pk_fma_f32 v[6:7], v[8:9], v[6:7], v[10:11] neg_lo:[0,0,1] neg_hi:[0,0,1]
	s_delay_alu instid0(VALU_DEP_2) | instskip(SKIP_1) | instid1(VALU_DEP_1)
	v_mov_b32_e32 v7, v13
	s_wait_loadcnt_dscnt 0x0
	v_pk_add_f32 v[4:5], v[4:5], v[6:7]
	flat_store_b64 v[2:3], v[4:5]
	s_branch .LBB53_2
.LBB53_7:
	s_endpgm
	.section	.rodata,"a",@progbits
	.p2align	6, 0x0
	.amdhsa_kernel _ZL18rocblas_syr_kernelILb1ELi1024E19rocblas_complex_numIfES1_PKPKS1_PKPS1_EvimT2_lT3_lllT4_llli
		.amdhsa_group_segment_fixed_size 0
		.amdhsa_private_segment_fixed_size 0
		.amdhsa_kernarg_size 360
		.amdhsa_user_sgpr_count 2
		.amdhsa_user_sgpr_dispatch_ptr 0
		.amdhsa_user_sgpr_queue_ptr 0
		.amdhsa_user_sgpr_kernarg_segment_ptr 1
		.amdhsa_user_sgpr_dispatch_id 0
		.amdhsa_user_sgpr_kernarg_preload_length 0
		.amdhsa_user_sgpr_kernarg_preload_offset 0
		.amdhsa_user_sgpr_private_segment_size 0
		.amdhsa_wavefront_size32 1
		.amdhsa_uses_dynamic_stack 0
		.amdhsa_enable_private_segment 0
		.amdhsa_system_sgpr_workgroup_id_x 1
		.amdhsa_system_sgpr_workgroup_id_y 0
		.amdhsa_system_sgpr_workgroup_id_z 1
		.amdhsa_system_sgpr_workgroup_info 0
		.amdhsa_system_vgpr_workitem_id 0
		.amdhsa_next_free_vgpr 16
		.amdhsa_next_free_sgpr 26
		.amdhsa_named_barrier_count 0
		.amdhsa_reserve_vcc 1
		.amdhsa_float_round_mode_32 0
		.amdhsa_float_round_mode_16_64 0
		.amdhsa_float_denorm_mode_32 3
		.amdhsa_float_denorm_mode_16_64 3
		.amdhsa_fp16_overflow 0
		.amdhsa_memory_ordered 1
		.amdhsa_forward_progress 1
		.amdhsa_inst_pref_size 7
		.amdhsa_round_robin_scheduling 0
		.amdhsa_exception_fp_ieee_invalid_op 0
		.amdhsa_exception_fp_denorm_src 0
		.amdhsa_exception_fp_ieee_div_zero 0
		.amdhsa_exception_fp_ieee_overflow 0
		.amdhsa_exception_fp_ieee_underflow 0
		.amdhsa_exception_fp_ieee_inexact 0
		.amdhsa_exception_int_div_zero 0
	.end_amdhsa_kernel
	.section	.text._ZL18rocblas_syr_kernelILb1ELi1024E19rocblas_complex_numIfES1_PKPKS1_PKPS1_EvimT2_lT3_lllT4_llli,"axG",@progbits,_ZL18rocblas_syr_kernelILb1ELi1024E19rocblas_complex_numIfES1_PKPKS1_PKPS1_EvimT2_lT3_lllT4_llli,comdat
.Lfunc_end53:
	.size	_ZL18rocblas_syr_kernelILb1ELi1024E19rocblas_complex_numIfES1_PKPKS1_PKPS1_EvimT2_lT3_lllT4_llli, .Lfunc_end53-_ZL18rocblas_syr_kernelILb1ELi1024E19rocblas_complex_numIfES1_PKPKS1_PKPS1_EvimT2_lT3_lllT4_llli
                                        ; -- End function
	.set _ZL18rocblas_syr_kernelILb1ELi1024E19rocblas_complex_numIfES1_PKPKS1_PKPS1_EvimT2_lT3_lllT4_llli.num_vgpr, 16
	.set _ZL18rocblas_syr_kernelILb1ELi1024E19rocblas_complex_numIfES1_PKPKS1_PKPS1_EvimT2_lT3_lllT4_llli.num_agpr, 0
	.set _ZL18rocblas_syr_kernelILb1ELi1024E19rocblas_complex_numIfES1_PKPKS1_PKPS1_EvimT2_lT3_lllT4_llli.numbered_sgpr, 26
	.set _ZL18rocblas_syr_kernelILb1ELi1024E19rocblas_complex_numIfES1_PKPKS1_PKPS1_EvimT2_lT3_lllT4_llli.num_named_barrier, 0
	.set _ZL18rocblas_syr_kernelILb1ELi1024E19rocblas_complex_numIfES1_PKPKS1_PKPS1_EvimT2_lT3_lllT4_llli.private_seg_size, 0
	.set _ZL18rocblas_syr_kernelILb1ELi1024E19rocblas_complex_numIfES1_PKPKS1_PKPS1_EvimT2_lT3_lllT4_llli.uses_vcc, 1
	.set _ZL18rocblas_syr_kernelILb1ELi1024E19rocblas_complex_numIfES1_PKPKS1_PKPS1_EvimT2_lT3_lllT4_llli.uses_flat_scratch, 0
	.set _ZL18rocblas_syr_kernelILb1ELi1024E19rocblas_complex_numIfES1_PKPKS1_PKPS1_EvimT2_lT3_lllT4_llli.has_dyn_sized_stack, 0
	.set _ZL18rocblas_syr_kernelILb1ELi1024E19rocblas_complex_numIfES1_PKPKS1_PKPS1_EvimT2_lT3_lllT4_llli.has_recursion, 0
	.set _ZL18rocblas_syr_kernelILb1ELi1024E19rocblas_complex_numIfES1_PKPKS1_PKPS1_EvimT2_lT3_lllT4_llli.has_indirect_call, 0
	.section	.AMDGPU.csdata,"",@progbits
; Kernel info:
; codeLenInByte = 792
; TotalNumSgprs: 28
; NumVgprs: 16
; ScratchSize: 0
; MemoryBound: 0
; FloatMode: 240
; IeeeMode: 1
; LDSByteSize: 0 bytes/workgroup (compile time only)
; SGPRBlocks: 0
; VGPRBlocks: 0
; NumSGPRsForWavesPerEU: 28
; NumVGPRsForWavesPerEU: 16
; NamedBarCnt: 0
; Occupancy: 16
; WaveLimiterHint : 1
; COMPUTE_PGM_RSRC2:SCRATCH_EN: 0
; COMPUTE_PGM_RSRC2:USER_SGPR: 2
; COMPUTE_PGM_RSRC2:TRAP_HANDLER: 0
; COMPUTE_PGM_RSRC2:TGID_X_EN: 1
; COMPUTE_PGM_RSRC2:TGID_Y_EN: 0
; COMPUTE_PGM_RSRC2:TGID_Z_EN: 1
; COMPUTE_PGM_RSRC2:TIDIG_COMP_CNT: 0
	.section	.text._ZL23rocblas_syr_kernel_inc1ILb0ELi1024E19rocblas_complex_numIfES1_PKPKS1_PKPS1_EvimT2_lT3_llT4_llli,"axG",@progbits,_ZL23rocblas_syr_kernel_inc1ILb0ELi1024E19rocblas_complex_numIfES1_PKPKS1_PKPS1_EvimT2_lT3_llT4_llli,comdat
	.globl	_ZL23rocblas_syr_kernel_inc1ILb0ELi1024E19rocblas_complex_numIfES1_PKPKS1_PKPS1_EvimT2_lT3_llT4_llli ; -- Begin function _ZL23rocblas_syr_kernel_inc1ILb0ELi1024E19rocblas_complex_numIfES1_PKPKS1_PKPS1_EvimT2_lT3_llT4_llli
	.p2align	8
	.type	_ZL23rocblas_syr_kernel_inc1ILb0ELi1024E19rocblas_complex_numIfES1_PKPKS1_PKPS1_EvimT2_lT3_llT4_llli,@function
_ZL23rocblas_syr_kernel_inc1ILb0ELi1024E19rocblas_complex_numIfES1_PKPKS1_PKPS1_EvimT2_lT3_llT4_llli: ; @_ZL23rocblas_syr_kernel_inc1ILb0ELi1024E19rocblas_complex_numIfES1_PKPKS1_PKPS1_EvimT2_lT3_llT4_llli
; %bb.0:
	s_load_b32 s20, s[0:1], 0x58
	s_bfe_u32 s2, ttmp6, 0x40014
	s_lshr_b32 s3, ttmp7, 16
	s_add_co_i32 s2, s2, 1
	s_bfe_u32 s4, ttmp6, 0x40008
	s_mul_i32 s2, s3, s2
	s_getreg_b32 s23, hwreg(HW_REG_IB_STS2, 6, 4)
	s_add_co_i32 s4, s4, s2
	s_cmp_eq_u32 s23, 0
	s_cselect_b32 s21, s3, s4
	s_wait_kmcnt 0x0
	s_cmp_ge_u32 s21, s20
	s_cbranch_scc1 .LBB54_7
; %bb.1:
	s_clause 0x4
	s_load_b128 s[4:7], s[0:1], 0x8
	s_load_b32 s2, s[0:1], 0x0
	s_load_b128 s[8:11], s[0:1], 0x20
	s_load_b128 s[12:15], s[0:1], 0x38
	s_load_b64 s[16:17], s[0:1], 0x48
	v_mov_b32_e32 v1, 0
	s_wait_xcnt 0x0
	s_add_nc_u64 s[0:1], s[0:1], 0x60
	s_wait_kmcnt 0x0
	s_or_b32 s3, s6, s7
	s_delay_alu instid0(SALU_CYCLE_1)
	s_and_b32 s18, s3, 0x7fffffff
	s_ashr_i32 s3, s2, 31
	s_cmp_lg_u32 s18, 0
	s_mov_b32 s18, s7
	s_cselect_b32 s22, -1, 0
	s_bfe_u32 s19, ttmp6, 0x4000c
	s_and_b32 s24, ttmp6, 15
	s_add_co_i32 s19, s19, 1
	s_delay_alu instid0(SALU_CYCLE_1)
	s_mul_i32 s25, ttmp9, s19
	s_mov_b32 s19, s6
	s_add_co_i32 s24, s24, s25
	s_cmp_eq_u32 s23, 0
	s_cselect_b32 s23, ttmp9, s24
	s_add_co_i32 s24, s2, -1
	s_lshl_b64 s[14:15], s[14:15], 3
	s_lshl_b64 s[10:11], s[10:11], 3
	s_branch .LBB54_4
.LBB54_2:                               ;   in Loop: Header=BB54_4 Depth=1
	s_wait_xcnt 0x0
	s_or_b32 exec_lo, exec_lo, s25
.LBB54_3:                               ;   in Loop: Header=BB54_4 Depth=1
	s_add_co_i32 s21, s21, 0x10000
	s_delay_alu instid0(SALU_CYCLE_1)
	s_cmp_lt_u32 s21, s20
	s_cbranch_scc0 .LBB54_7
.LBB54_4:                               ; =>This Inner Loop Header: Depth=1
	s_and_not1_b32 vcc_lo, exec_lo, s22
	s_cbranch_vccnz .LBB54_3
; %bb.5:                                ;   in Loop: Header=BB54_4 Depth=1
	s_load_b32 s25, s[0:1], 0xc
	s_wait_kmcnt 0x0
	s_and_b32 s25, s25, 0xffff
	s_delay_alu instid0(SALU_CYCLE_1) | instskip(SKIP_1) | instid1(VALU_DEP_1)
	v_mad_nc_u64_u32 v[2:3], s25, s23, v[0:1]
	s_mov_b32 s25, exec_lo
	v_cmpx_gt_u64_e64 s[4:5], v[2:3]
	s_cbranch_execz .LBB54_2
; %bb.6:                                ;   in Loop: Header=BB54_4 Depth=1
	v_not_b32_e32 v3, v3
	v_not_b32_e32 v2, v2
	s_delay_alu instid0(VALU_DEP_1) | instskip(NEXT) | instid1(VALU_DEP_1)
	v_add_nc_u64_e32 v[2:3], s[4:5], v[2:3]
	v_lshlrev_b64_e32 v[4:5], 3, v[2:3]
	v_sub_nc_u32_e32 v2, s24, v2
	s_delay_alu instid0(VALU_DEP_2) | instskip(NEXT) | instid1(VALU_DEP_3)
	v_cvt_f64_u32_e32 v[6:7], v5
	v_or_b32_e32 v3, 1, v4
	s_delay_alu instid0(VALU_DEP_1) | instskip(NEXT) | instid1(VALU_DEP_3)
	v_cvt_f64_u32_e32 v[4:5], v3
	v_ldexp_f64 v[6:7], v[6:7], 32
	s_delay_alu instid0(VALU_DEP_1) | instskip(NEXT) | instid1(VALU_DEP_1)
	v_add_f64_e32 v[4:5], v[6:7], v[4:5]
	v_cmp_gt_f64_e32 vcc_lo, 0x10000000, v[4:5]
	v_cndmask_b32_e64 v3, 0, 0x100, vcc_lo
	s_delay_alu instid0(VALU_DEP_1)
	v_ldexp_f64 v[4:5], v[4:5], v3
	v_mov_b32_e32 v3, s21
	s_clause 0x1
	global_load_b64 v[12:13], v3, s[8:9] scale_offset
	global_load_b64 v[14:15], v3, s[12:13] scale_offset
	s_wait_xcnt 0x0
	v_cndmask_b32_e64 v3, 0, 0xffffff80, vcc_lo
	v_rsq_f64_e32 v[6:7], v[4:5]
	v_cmp_class_f64_e64 vcc_lo, v[4:5], 0x260
	s_delay_alu instid0(TRANS32_DEP_1) | instskip(SKIP_1) | instid1(VALU_DEP_1)
	v_mul_f64_e32 v[8:9], v[4:5], v[6:7]
	v_mul_f64_e32 v[6:7], 0.5, v[6:7]
	v_fma_f64 v[10:11], -v[6:7], v[8:9], 0.5
	s_delay_alu instid0(VALU_DEP_1) | instskip(SKIP_1) | instid1(VALU_DEP_2)
	v_fmac_f64_e32 v[8:9], v[8:9], v[10:11]
	v_fmac_f64_e32 v[6:7], v[6:7], v[10:11]
	v_fma_f64 v[10:11], -v[8:9], v[8:9], v[4:5]
	s_delay_alu instid0(VALU_DEP_1) | instskip(NEXT) | instid1(VALU_DEP_1)
	v_fmac_f64_e32 v[8:9], v[10:11], v[6:7]
	v_fma_f64 v[10:11], -v[8:9], v[8:9], v[4:5]
	s_delay_alu instid0(VALU_DEP_1) | instskip(NEXT) | instid1(VALU_DEP_1)
	v_fmac_f64_e32 v[8:9], v[10:11], v[6:7]
	v_ldexp_f64 v[6:7], v[8:9], v3
	s_wait_loadcnt 0x1
	v_add_nc_u64_e32 v[8:9], s[10:11], v[12:13]
	s_delay_alu instid0(VALU_DEP_2) | instskip(SKIP_1) | instid1(VALU_DEP_2)
	v_dual_cndmask_b32 v5, v7, v5 :: v_dual_cndmask_b32 v4, v6, v4
	v_mov_b64_e32 v[12:13], s[6:7]
	v_add_f64_e32 v[4:5], -1.0, v[4:5]
	s_delay_alu instid0(VALU_DEP_4) | instskip(SKIP_1) | instid1(VALU_DEP_3)
	v_readfirstlane_b32 s26, v8
	v_readfirstlane_b32 s27, v9
	v_mul_f64_e32 v[4:5], 0.5, v[4:5]
	s_delay_alu instid0(VALU_DEP_1) | instskip(NEXT) | instid1(VALU_DEP_1)
	v_cvt_i32_f64_e32 v4, v[4:5]
	v_mad_u32 v3, v4, v4, v4
	s_delay_alu instid0(VALU_DEP_1) | instskip(NEXT) | instid1(VALU_DEP_1)
	v_dual_sub_nc_u32 v6, s24, v4 :: v_dual_lshrrev_b32 v5, 31, v3
	v_dual_add_nc_u32 v3, v3, v5 :: v_dual_ashrrev_i32 v5, 31, v4
	s_delay_alu instid0(VALU_DEP_1) | instskip(NEXT) | instid1(VALU_DEP_2)
	v_dual_ashrrev_i32 v7, 31, v6 :: v_dual_ashrrev_i32 v3, 1, v3
	v_sub_nc_u64_e32 v[4:5], s[2:3], v[4:5]
	s_delay_alu instid0(VALU_DEP_2) | instskip(NEXT) | instid1(VALU_DEP_3)
	v_mul_u64_e32 v[6:7], s[16:17], v[6:7]
	v_add_nc_u32_e32 v2, v2, v3
	s_delay_alu instid0(VALU_DEP_3)
	v_lshl_add_u64 v[4:5], v[4:5], 3, v[8:9]
	s_wait_loadcnt 0x0
	v_add_nc_u64_e32 v[8:9], s[14:15], v[14:15]
	s_clause 0x1
	flat_load_b64 v[10:11], v2, s[26:27] scale_offset
	flat_load_b64 v[4:5], v[4:5] offset:-8
	v_lshl_add_u64 v[6:7], v[6:7], 3, v[8:9]
	v_mov_b64_e32 v[8:9], s[18:19]
	s_wait_loadcnt_dscnt 0x101
	s_delay_alu instid0(VALU_DEP_1) | instskip(SKIP_1) | instid1(VALU_DEP_2)
	v_pk_mul_f32 v[8:9], v[10:11], v[8:9]
	v_pk_mul_f32 v[10:11], v[10:11], v[12:13]
	v_add_f32_e32 v8, v8, v9
	s_delay_alu instid0(VALU_DEP_2) | instskip(SKIP_1) | instid1(VALU_DEP_2)
	v_pk_add_f32 v[10:11], v[10:11], v[10:11] op_sel:[0,1] op_sel_hi:[0,1] neg_lo:[0,1] neg_hi:[0,1]
	s_wait_loadcnt_dscnt 0x0
	v_pk_mul_f32 v[8:9], v[4:5], v[8:9] op_sel:[1,0] op_sel_hi:[0,0]
	s_delay_alu instid0(VALU_DEP_1) | instskip(SKIP_3) | instid1(VALU_DEP_3)
	v_pk_fma_f32 v[12:13], v[4:5], v[10:11], v[8:9]
	v_ashrrev_i32_e32 v3, 31, v2
	s_wait_xcnt 0x0
	v_pk_fma_f32 v[4:5], v[4:5], v[10:11], v[8:9] neg_lo:[0,0,1] neg_hi:[0,0,1]
	v_mov_b32_e32 v5, v13
	s_delay_alu instid0(VALU_DEP_3)
	v_lshl_add_u64 v[2:3], v[2:3], 3, v[6:7]
	flat_load_b64 v[6:7], v[2:3]
	s_wait_loadcnt_dscnt 0x0
	v_pk_add_f32 v[4:5], v[6:7], v[4:5]
	flat_store_b64 v[2:3], v[4:5]
	s_branch .LBB54_2
.LBB54_7:
	s_endpgm
	.section	.rodata,"a",@progbits
	.p2align	6, 0x0
	.amdhsa_kernel _ZL23rocblas_syr_kernel_inc1ILb0ELi1024E19rocblas_complex_numIfES1_PKPKS1_PKPS1_EvimT2_lT3_llT4_llli
		.amdhsa_group_segment_fixed_size 0
		.amdhsa_private_segment_fixed_size 0
		.amdhsa_kernarg_size 352
		.amdhsa_user_sgpr_count 2
		.amdhsa_user_sgpr_dispatch_ptr 0
		.amdhsa_user_sgpr_queue_ptr 0
		.amdhsa_user_sgpr_kernarg_segment_ptr 1
		.amdhsa_user_sgpr_dispatch_id 0
		.amdhsa_user_sgpr_kernarg_preload_length 0
		.amdhsa_user_sgpr_kernarg_preload_offset 0
		.amdhsa_user_sgpr_private_segment_size 0
		.amdhsa_wavefront_size32 1
		.amdhsa_uses_dynamic_stack 0
		.amdhsa_enable_private_segment 0
		.amdhsa_system_sgpr_workgroup_id_x 1
		.amdhsa_system_sgpr_workgroup_id_y 0
		.amdhsa_system_sgpr_workgroup_id_z 1
		.amdhsa_system_sgpr_workgroup_info 0
		.amdhsa_system_vgpr_workitem_id 0
		.amdhsa_next_free_vgpr 16
		.amdhsa_next_free_sgpr 28
		.amdhsa_named_barrier_count 0
		.amdhsa_reserve_vcc 1
		.amdhsa_float_round_mode_32 0
		.amdhsa_float_round_mode_16_64 0
		.amdhsa_float_denorm_mode_32 3
		.amdhsa_float_denorm_mode_16_64 3
		.amdhsa_fp16_overflow 0
		.amdhsa_memory_ordered 1
		.amdhsa_forward_progress 1
		.amdhsa_inst_pref_size 7
		.amdhsa_round_robin_scheduling 0
		.amdhsa_exception_fp_ieee_invalid_op 0
		.amdhsa_exception_fp_denorm_src 0
		.amdhsa_exception_fp_ieee_div_zero 0
		.amdhsa_exception_fp_ieee_overflow 0
		.amdhsa_exception_fp_ieee_underflow 0
		.amdhsa_exception_fp_ieee_inexact 0
		.amdhsa_exception_int_div_zero 0
	.end_amdhsa_kernel
	.section	.text._ZL23rocblas_syr_kernel_inc1ILb0ELi1024E19rocblas_complex_numIfES1_PKPKS1_PKPS1_EvimT2_lT3_llT4_llli,"axG",@progbits,_ZL23rocblas_syr_kernel_inc1ILb0ELi1024E19rocblas_complex_numIfES1_PKPKS1_PKPS1_EvimT2_lT3_llT4_llli,comdat
.Lfunc_end54:
	.size	_ZL23rocblas_syr_kernel_inc1ILb0ELi1024E19rocblas_complex_numIfES1_PKPKS1_PKPS1_EvimT2_lT3_llT4_llli, .Lfunc_end54-_ZL23rocblas_syr_kernel_inc1ILb0ELi1024E19rocblas_complex_numIfES1_PKPKS1_PKPS1_EvimT2_lT3_llT4_llli
                                        ; -- End function
	.set _ZL23rocblas_syr_kernel_inc1ILb0ELi1024E19rocblas_complex_numIfES1_PKPKS1_PKPS1_EvimT2_lT3_llT4_llli.num_vgpr, 16
	.set _ZL23rocblas_syr_kernel_inc1ILb0ELi1024E19rocblas_complex_numIfES1_PKPKS1_PKPS1_EvimT2_lT3_llT4_llli.num_agpr, 0
	.set _ZL23rocblas_syr_kernel_inc1ILb0ELi1024E19rocblas_complex_numIfES1_PKPKS1_PKPS1_EvimT2_lT3_llT4_llli.numbered_sgpr, 28
	.set _ZL23rocblas_syr_kernel_inc1ILb0ELi1024E19rocblas_complex_numIfES1_PKPKS1_PKPS1_EvimT2_lT3_llT4_llli.num_named_barrier, 0
	.set _ZL23rocblas_syr_kernel_inc1ILb0ELi1024E19rocblas_complex_numIfES1_PKPKS1_PKPS1_EvimT2_lT3_llT4_llli.private_seg_size, 0
	.set _ZL23rocblas_syr_kernel_inc1ILb0ELi1024E19rocblas_complex_numIfES1_PKPKS1_PKPS1_EvimT2_lT3_llT4_llli.uses_vcc, 1
	.set _ZL23rocblas_syr_kernel_inc1ILb0ELi1024E19rocblas_complex_numIfES1_PKPKS1_PKPS1_EvimT2_lT3_llT4_llli.uses_flat_scratch, 1
	.set _ZL23rocblas_syr_kernel_inc1ILb0ELi1024E19rocblas_complex_numIfES1_PKPKS1_PKPS1_EvimT2_lT3_llT4_llli.has_dyn_sized_stack, 0
	.set _ZL23rocblas_syr_kernel_inc1ILb0ELi1024E19rocblas_complex_numIfES1_PKPKS1_PKPS1_EvimT2_lT3_llT4_llli.has_recursion, 0
	.set _ZL23rocblas_syr_kernel_inc1ILb0ELi1024E19rocblas_complex_numIfES1_PKPKS1_PKPS1_EvimT2_lT3_llT4_llli.has_indirect_call, 0
	.section	.AMDGPU.csdata,"",@progbits
; Kernel info:
; codeLenInByte = 848
; TotalNumSgprs: 30
; NumVgprs: 16
; ScratchSize: 0
; MemoryBound: 0
; FloatMode: 240
; IeeeMode: 1
; LDSByteSize: 0 bytes/workgroup (compile time only)
; SGPRBlocks: 0
; VGPRBlocks: 0
; NumSGPRsForWavesPerEU: 30
; NumVGPRsForWavesPerEU: 16
; NamedBarCnt: 0
; Occupancy: 16
; WaveLimiterHint : 1
; COMPUTE_PGM_RSRC2:SCRATCH_EN: 0
; COMPUTE_PGM_RSRC2:USER_SGPR: 2
; COMPUTE_PGM_RSRC2:TRAP_HANDLER: 0
; COMPUTE_PGM_RSRC2:TGID_X_EN: 1
; COMPUTE_PGM_RSRC2:TGID_Y_EN: 0
; COMPUTE_PGM_RSRC2:TGID_Z_EN: 1
; COMPUTE_PGM_RSRC2:TIDIG_COMP_CNT: 0
	.section	.text._ZL18rocblas_syr_kernelILb0ELi1024E19rocblas_complex_numIfES1_PKPKS1_PKPS1_EvimT2_lT3_lllT4_llli,"axG",@progbits,_ZL18rocblas_syr_kernelILb0ELi1024E19rocblas_complex_numIfES1_PKPKS1_PKPS1_EvimT2_lT3_lllT4_llli,comdat
	.globl	_ZL18rocblas_syr_kernelILb0ELi1024E19rocblas_complex_numIfES1_PKPKS1_PKPS1_EvimT2_lT3_lllT4_llli ; -- Begin function _ZL18rocblas_syr_kernelILb0ELi1024E19rocblas_complex_numIfES1_PKPKS1_PKPS1_EvimT2_lT3_lllT4_llli
	.p2align	8
	.type	_ZL18rocblas_syr_kernelILb0ELi1024E19rocblas_complex_numIfES1_PKPKS1_PKPS1_EvimT2_lT3_lllT4_llli,@function
_ZL18rocblas_syr_kernelILb0ELi1024E19rocblas_complex_numIfES1_PKPKS1_PKPS1_EvimT2_lT3_lllT4_llli: ; @_ZL18rocblas_syr_kernelILb0ELi1024E19rocblas_complex_numIfES1_PKPKS1_PKPS1_EvimT2_lT3_lllT4_llli
; %bb.0:
	s_load_b32 s20, s[0:1], 0x60
	s_bfe_u32 s2, ttmp6, 0x40014
	s_lshr_b32 s3, ttmp7, 16
	s_add_co_i32 s2, s2, 1
	s_bfe_u32 s4, ttmp6, 0x40008
	s_mul_i32 s2, s3, s2
	s_getreg_b32 s23, hwreg(HW_REG_IB_STS2, 6, 4)
	s_add_co_i32 s4, s4, s2
	s_cmp_eq_u32 s23, 0
	s_cselect_b32 s21, s3, s4
	s_wait_kmcnt 0x0
	s_cmp_ge_u32 s21, s20
	s_cbranch_scc1 .LBB55_7
; %bb.1:
	s_clause 0x5
	s_load_b128 s[4:7], s[0:1], 0x8
	s_load_b32 s24, s[0:1], 0x0
	s_load_b64 s[2:3], s[0:1], 0x50
	s_load_b128 s[8:11], s[0:1], 0x40
	s_load_b128 s[12:15], s[0:1], 0x20
	s_load_b64 s[16:17], s[0:1], 0x30
	v_mov_b32_e32 v1, 0
	s_wait_xcnt 0x0
	s_add_nc_u64 s[0:1], s[0:1], 0x68
	s_wait_kmcnt 0x0
	s_or_b32 s18, s6, s7
	s_delay_alu instid0(SALU_CYCLE_1) | instskip(NEXT) | instid1(SALU_CYCLE_1)
	s_bitset0_b32 s18, 31
	s_cmp_lg_u32 s18, 0
	s_mov_b32 s18, s7
	s_cselect_b32 s22, -1, 0
	s_bfe_u32 s19, ttmp6, 0x4000c
	s_and_b32 s25, ttmp6, 15
	s_add_co_i32 s19, s19, 1
	s_delay_alu instid0(SALU_CYCLE_1)
	s_mul_i32 s26, ttmp9, s19
	s_mov_b32 s19, s6
	s_add_co_i32 s25, s25, s26
	s_cmp_eq_u32 s23, 0
	s_cselect_b32 s23, ttmp9, s25
	s_add_co_i32 s24, s24, -1
	s_lshl_b64 s[10:11], s[10:11], 3
	s_lshl_b64 s[14:15], s[14:15], 3
	s_branch .LBB55_4
.LBB55_2:                               ;   in Loop: Header=BB55_4 Depth=1
	s_wait_xcnt 0x0
	s_or_b32 exec_lo, exec_lo, s25
.LBB55_3:                               ;   in Loop: Header=BB55_4 Depth=1
	s_add_co_i32 s21, s21, 0x10000
	s_delay_alu instid0(SALU_CYCLE_1)
	s_cmp_lt_u32 s21, s20
	s_cbranch_scc0 .LBB55_7
.LBB55_4:                               ; =>This Inner Loop Header: Depth=1
	s_and_not1_b32 vcc_lo, exec_lo, s22
	s_cbranch_vccnz .LBB55_3
; %bb.5:                                ;   in Loop: Header=BB55_4 Depth=1
	s_load_b32 s25, s[0:1], 0xc
	s_wait_kmcnt 0x0
	s_and_b32 s25, s25, 0xffff
	s_delay_alu instid0(SALU_CYCLE_1) | instskip(SKIP_1) | instid1(VALU_DEP_1)
	v_mad_nc_u64_u32 v[2:3], s25, s23, v[0:1]
	s_mov_b32 s25, exec_lo
	v_cmpx_gt_u64_e64 s[4:5], v[2:3]
	s_cbranch_execz .LBB55_2
; %bb.6:                                ;   in Loop: Header=BB55_4 Depth=1
	v_not_b32_e32 v3, v3
	v_not_b32_e32 v2, v2
	s_delay_alu instid0(VALU_DEP_1) | instskip(NEXT) | instid1(VALU_DEP_1)
	v_add_nc_u64_e32 v[2:3], s[4:5], v[2:3]
	v_lshlrev_b64_e32 v[4:5], 3, v[2:3]
	v_sub_nc_u32_e32 v2, s24, v2
	s_delay_alu instid0(VALU_DEP_2) | instskip(NEXT) | instid1(VALU_DEP_3)
	v_cvt_f64_u32_e32 v[6:7], v5
	v_or_b32_e32 v3, 1, v4
	s_delay_alu instid0(VALU_DEP_1) | instskip(NEXT) | instid1(VALU_DEP_3)
	v_cvt_f64_u32_e32 v[4:5], v3
	v_ldexp_f64 v[6:7], v[6:7], 32
	s_delay_alu instid0(VALU_DEP_1) | instskip(NEXT) | instid1(VALU_DEP_1)
	v_add_f64_e32 v[4:5], v[6:7], v[4:5]
	v_cmp_gt_f64_e32 vcc_lo, 0x10000000, v[4:5]
	v_cndmask_b32_e64 v3, 0, 0x100, vcc_lo
	s_delay_alu instid0(VALU_DEP_1)
	v_ldexp_f64 v[4:5], v[4:5], v3
	v_mov_b32_e32 v3, s21
	s_clause 0x1
	global_load_b64 v[12:13], v3, s[12:13] scale_offset
	global_load_b64 v[14:15], v3, s[8:9] scale_offset
	s_wait_xcnt 0x0
	v_cndmask_b32_e64 v3, 0, 0xffffff80, vcc_lo
	v_rsq_f64_e32 v[6:7], v[4:5]
	v_cmp_class_f64_e64 vcc_lo, v[4:5], 0x260
	s_delay_alu instid0(TRANS32_DEP_1) | instskip(SKIP_1) | instid1(VALU_DEP_1)
	v_mul_f64_e32 v[8:9], v[4:5], v[6:7]
	v_mul_f64_e32 v[6:7], 0.5, v[6:7]
	v_fma_f64 v[10:11], -v[6:7], v[8:9], 0.5
	s_delay_alu instid0(VALU_DEP_1) | instskip(SKIP_1) | instid1(VALU_DEP_2)
	v_fmac_f64_e32 v[8:9], v[8:9], v[10:11]
	v_fmac_f64_e32 v[6:7], v[6:7], v[10:11]
	v_fma_f64 v[10:11], -v[8:9], v[8:9], v[4:5]
	s_delay_alu instid0(VALU_DEP_1) | instskip(NEXT) | instid1(VALU_DEP_1)
	v_fmac_f64_e32 v[8:9], v[10:11], v[6:7]
	v_fma_f64 v[10:11], -v[8:9], v[8:9], v[4:5]
	s_delay_alu instid0(VALU_DEP_1) | instskip(NEXT) | instid1(VALU_DEP_1)
	v_fmac_f64_e32 v[8:9], v[10:11], v[6:7]
	v_ldexp_f64 v[6:7], v[8:9], v3
	s_wait_loadcnt 0x1
	v_add_nc_u64_e32 v[10:11], s[14:15], v[12:13]
	v_mov_b64_e32 v[12:13], s[6:7]
	s_delay_alu instid0(VALU_DEP_3) | instskip(NEXT) | instid1(VALU_DEP_1)
	v_dual_cndmask_b32 v5, v7, v5 :: v_dual_cndmask_b32 v4, v6, v4
	v_add_f64_e32 v[4:5], -1.0, v[4:5]
	s_delay_alu instid0(VALU_DEP_1) | instskip(NEXT) | instid1(VALU_DEP_1)
	v_mul_f64_e32 v[4:5], 0.5, v[4:5]
	v_cvt_i32_f64_e32 v4, v[4:5]
	s_delay_alu instid0(VALU_DEP_1) | instskip(NEXT) | instid1(VALU_DEP_1)
	v_mad_u32 v3, v4, v4, v4
	v_dual_sub_nc_u32 v4, s24, v4 :: v_dual_lshrrev_b32 v5, 31, v3
	s_delay_alu instid0(VALU_DEP_1) | instskip(NEXT) | instid1(VALU_DEP_1)
	v_dual_add_nc_u32 v3, v3, v5 :: v_dual_ashrrev_i32 v5, 31, v4
	v_ashrrev_i32_e32 v3, 1, v3
	s_delay_alu instid0(VALU_DEP_2) | instskip(SKIP_1) | instid1(VALU_DEP_3)
	v_mul_u64_e32 v[8:9], s[16:17], v[4:5]
	v_mul_u64_e32 v[4:5], s[2:3], v[4:5]
	v_add_nc_u32_e32 v2, v2, v3
	s_delay_alu instid0(VALU_DEP_1) | instskip(NEXT) | instid1(VALU_DEP_1)
	v_ashrrev_i32_e32 v3, 31, v2
	v_mul_u64_e32 v[6:7], s[16:17], v[2:3]
	v_lshl_add_u64 v[8:9], v[8:9], 3, v[10:11]
	flat_load_b64 v[8:9], v[8:9]
	v_lshl_add_u64 v[6:7], v[6:7], 3, v[10:11]
	s_wait_loadcnt 0x1
	v_add_nc_u64_e32 v[10:11], s[10:11], v[14:15]
	flat_load_b64 v[6:7], v[6:7]
	v_lshl_add_u64 v[4:5], v[4:5], 3, v[10:11]
	v_mov_b64_e32 v[10:11], s[18:19]
	s_delay_alu instid0(VALU_DEP_2)
	v_lshl_add_u64 v[2:3], v[2:3], 3, v[4:5]
	flat_load_b64 v[4:5], v[2:3]
	s_wait_loadcnt_dscnt 0x101
	v_pk_mul_f32 v[10:11], v[6:7], v[10:11]
	s_wait_xcnt 0x1
	v_pk_mul_f32 v[6:7], v[6:7], v[12:13]
	s_delay_alu instid0(VALU_DEP_2) | instskip(NEXT) | instid1(VALU_DEP_2)
	v_add_f32_e32 v10, v10, v11
	v_pk_add_f32 v[6:7], v[6:7], v[6:7] op_sel:[0,1] op_sel_hi:[0,1] neg_lo:[0,1] neg_hi:[0,1]
	s_delay_alu instid0(VALU_DEP_2) | instskip(NEXT) | instid1(VALU_DEP_1)
	v_pk_mul_f32 v[10:11], v[8:9], v[10:11] op_sel:[1,0] op_sel_hi:[0,0]
	v_pk_fma_f32 v[12:13], v[8:9], v[6:7], v[10:11]
	v_pk_fma_f32 v[6:7], v[8:9], v[6:7], v[10:11] neg_lo:[0,0,1] neg_hi:[0,0,1]
	s_delay_alu instid0(VALU_DEP_2) | instskip(SKIP_1) | instid1(VALU_DEP_1)
	v_mov_b32_e32 v7, v13
	s_wait_loadcnt_dscnt 0x0
	v_pk_add_f32 v[4:5], v[4:5], v[6:7]
	flat_store_b64 v[2:3], v[4:5]
	s_branch .LBB55_2
.LBB55_7:
	s_endpgm
	.section	.rodata,"a",@progbits
	.p2align	6, 0x0
	.amdhsa_kernel _ZL18rocblas_syr_kernelILb0ELi1024E19rocblas_complex_numIfES1_PKPKS1_PKPS1_EvimT2_lT3_lllT4_llli
		.amdhsa_group_segment_fixed_size 0
		.amdhsa_private_segment_fixed_size 0
		.amdhsa_kernarg_size 360
		.amdhsa_user_sgpr_count 2
		.amdhsa_user_sgpr_dispatch_ptr 0
		.amdhsa_user_sgpr_queue_ptr 0
		.amdhsa_user_sgpr_kernarg_segment_ptr 1
		.amdhsa_user_sgpr_dispatch_id 0
		.amdhsa_user_sgpr_kernarg_preload_length 0
		.amdhsa_user_sgpr_kernarg_preload_offset 0
		.amdhsa_user_sgpr_private_segment_size 0
		.amdhsa_wavefront_size32 1
		.amdhsa_uses_dynamic_stack 0
		.amdhsa_enable_private_segment 0
		.amdhsa_system_sgpr_workgroup_id_x 1
		.amdhsa_system_sgpr_workgroup_id_y 0
		.amdhsa_system_sgpr_workgroup_id_z 1
		.amdhsa_system_sgpr_workgroup_info 0
		.amdhsa_system_vgpr_workitem_id 0
		.amdhsa_next_free_vgpr 16
		.amdhsa_next_free_sgpr 27
		.amdhsa_named_barrier_count 0
		.amdhsa_reserve_vcc 1
		.amdhsa_float_round_mode_32 0
		.amdhsa_float_round_mode_16_64 0
		.amdhsa_float_denorm_mode_32 3
		.amdhsa_float_denorm_mode_16_64 3
		.amdhsa_fp16_overflow 0
		.amdhsa_memory_ordered 1
		.amdhsa_forward_progress 1
		.amdhsa_inst_pref_size 7
		.amdhsa_round_robin_scheduling 0
		.amdhsa_exception_fp_ieee_invalid_op 0
		.amdhsa_exception_fp_denorm_src 0
		.amdhsa_exception_fp_ieee_div_zero 0
		.amdhsa_exception_fp_ieee_overflow 0
		.amdhsa_exception_fp_ieee_underflow 0
		.amdhsa_exception_fp_ieee_inexact 0
		.amdhsa_exception_int_div_zero 0
	.end_amdhsa_kernel
	.section	.text._ZL18rocblas_syr_kernelILb0ELi1024E19rocblas_complex_numIfES1_PKPKS1_PKPS1_EvimT2_lT3_lllT4_llli,"axG",@progbits,_ZL18rocblas_syr_kernelILb0ELi1024E19rocblas_complex_numIfES1_PKPKS1_PKPS1_EvimT2_lT3_lllT4_llli,comdat
.Lfunc_end55:
	.size	_ZL18rocblas_syr_kernelILb0ELi1024E19rocblas_complex_numIfES1_PKPKS1_PKPS1_EvimT2_lT3_lllT4_llli, .Lfunc_end55-_ZL18rocblas_syr_kernelILb0ELi1024E19rocblas_complex_numIfES1_PKPKS1_PKPS1_EvimT2_lT3_lllT4_llli
                                        ; -- End function
	.set _ZL18rocblas_syr_kernelILb0ELi1024E19rocblas_complex_numIfES1_PKPKS1_PKPS1_EvimT2_lT3_lllT4_llli.num_vgpr, 16
	.set _ZL18rocblas_syr_kernelILb0ELi1024E19rocblas_complex_numIfES1_PKPKS1_PKPS1_EvimT2_lT3_lllT4_llli.num_agpr, 0
	.set _ZL18rocblas_syr_kernelILb0ELi1024E19rocblas_complex_numIfES1_PKPKS1_PKPS1_EvimT2_lT3_lllT4_llli.numbered_sgpr, 27
	.set _ZL18rocblas_syr_kernelILb0ELi1024E19rocblas_complex_numIfES1_PKPKS1_PKPS1_EvimT2_lT3_lllT4_llli.num_named_barrier, 0
	.set _ZL18rocblas_syr_kernelILb0ELi1024E19rocblas_complex_numIfES1_PKPKS1_PKPS1_EvimT2_lT3_lllT4_llli.private_seg_size, 0
	.set _ZL18rocblas_syr_kernelILb0ELi1024E19rocblas_complex_numIfES1_PKPKS1_PKPS1_EvimT2_lT3_lllT4_llli.uses_vcc, 1
	.set _ZL18rocblas_syr_kernelILb0ELi1024E19rocblas_complex_numIfES1_PKPKS1_PKPS1_EvimT2_lT3_lllT4_llli.uses_flat_scratch, 0
	.set _ZL18rocblas_syr_kernelILb0ELi1024E19rocblas_complex_numIfES1_PKPKS1_PKPS1_EvimT2_lT3_lllT4_llli.has_dyn_sized_stack, 0
	.set _ZL18rocblas_syr_kernelILb0ELi1024E19rocblas_complex_numIfES1_PKPKS1_PKPS1_EvimT2_lT3_lllT4_llli.has_recursion, 0
	.set _ZL18rocblas_syr_kernelILb0ELi1024E19rocblas_complex_numIfES1_PKPKS1_PKPS1_EvimT2_lT3_lllT4_llli.has_indirect_call, 0
	.section	.AMDGPU.csdata,"",@progbits
; Kernel info:
; codeLenInByte = 832
; TotalNumSgprs: 29
; NumVgprs: 16
; ScratchSize: 0
; MemoryBound: 0
; FloatMode: 240
; IeeeMode: 1
; LDSByteSize: 0 bytes/workgroup (compile time only)
; SGPRBlocks: 0
; VGPRBlocks: 0
; NumSGPRsForWavesPerEU: 29
; NumVGPRsForWavesPerEU: 16
; NamedBarCnt: 0
; Occupancy: 16
; WaveLimiterHint : 1
; COMPUTE_PGM_RSRC2:SCRATCH_EN: 0
; COMPUTE_PGM_RSRC2:USER_SGPR: 2
; COMPUTE_PGM_RSRC2:TRAP_HANDLER: 0
; COMPUTE_PGM_RSRC2:TGID_X_EN: 1
; COMPUTE_PGM_RSRC2:TGID_Y_EN: 0
; COMPUTE_PGM_RSRC2:TGID_Z_EN: 1
; COMPUTE_PGM_RSRC2:TIDIG_COMP_CNT: 0
	.section	.text._ZL23rocblas_syr_kernel_inc1ILb1ELi1024E19rocblas_complex_numIdEPKS1_PKS3_PKPS1_EvimT2_lT3_llT4_llli,"axG",@progbits,_ZL23rocblas_syr_kernel_inc1ILb1ELi1024E19rocblas_complex_numIdEPKS1_PKS3_PKPS1_EvimT2_lT3_llT4_llli,comdat
	.globl	_ZL23rocblas_syr_kernel_inc1ILb1ELi1024E19rocblas_complex_numIdEPKS1_PKS3_PKPS1_EvimT2_lT3_llT4_llli ; -- Begin function _ZL23rocblas_syr_kernel_inc1ILb1ELi1024E19rocblas_complex_numIdEPKS1_PKS3_PKPS1_EvimT2_lT3_llT4_llli
	.p2align	8
	.type	_ZL23rocblas_syr_kernel_inc1ILb1ELi1024E19rocblas_complex_numIdEPKS1_PKS3_PKPS1_EvimT2_lT3_llT4_llli,@function
_ZL23rocblas_syr_kernel_inc1ILb1ELi1024E19rocblas_complex_numIdEPKS1_PKS3_PKPS1_EvimT2_lT3_llT4_llli: ; @_ZL23rocblas_syr_kernel_inc1ILb1ELi1024E19rocblas_complex_numIdEPKS1_PKS3_PKPS1_EvimT2_lT3_llT4_llli
; %bb.0:
	s_load_b32 s22, s[0:1], 0x58
	s_bfe_u32 s2, ttmp6, 0x40014
	s_lshr_b32 s3, ttmp7, 16
	s_add_co_i32 s2, s2, 1
	s_bfe_u32 s4, ttmp6, 0x40008
	s_mul_i32 s2, s3, s2
	s_getreg_b32 s20, hwreg(HW_REG_IB_STS2, 6, 4)
	s_add_co_i32 s4, s4, s2
	s_cmp_eq_u32 s20, 0
	s_cselect_b32 s2, s3, s4
	s_mov_b32 s3, 0
	s_wait_kmcnt 0x0
	s_cmp_ge_u32 s2, s22
	s_cbranch_scc1 .LBB56_7
; %bb.1:
	s_clause 0x3
	s_load_b128 s[12:15], s[0:1], 0x38
	s_load_b64 s[24:25], s[0:1], 0x28
	s_load_b256 s[4:11], s[0:1], 0x8
	s_load_b64 s[16:17], s[0:1], 0x48
	s_bfe_u32 s18, ttmp6, 0x4000c
	s_and_b32 s21, ttmp6, 15
	s_add_co_i32 s18, s18, 1
	v_mov_b32_e32 v1, 0
	s_mul_i32 s23, ttmp9, s18
	s_add_nc_u64 s[18:19], s[0:1], 0x60
	s_add_co_i32 s21, s21, s23
	s_cmp_eq_u32 s20, 0
	s_wait_xcnt 0x0
	s_cselect_b32 s1, ttmp9, s21
	s_wait_kmcnt 0x0
	s_lshl_b64 s[14:15], s[14:15], 4
	s_lshl_b64 s[20:21], s[24:25], 4
	s_branch .LBB56_4
.LBB56_2:                               ;   in Loop: Header=BB56_4 Depth=1
	s_wait_xcnt 0x0
	s_or_b32 exec_lo, exec_lo, s0
.LBB56_3:                               ;   in Loop: Header=BB56_4 Depth=1
	s_add_co_i32 s2, s2, 0x10000
	s_delay_alu instid0(SALU_CYCLE_1)
	s_cmp_lt_u32 s2, s22
	s_cbranch_scc0 .LBB56_7
.LBB56_4:                               ; =>This Inner Loop Header: Depth=1
	s_wait_xcnt 0x0
	s_mul_u64 s[24:25], s[8:9], s[2:3]
	s_delay_alu instid0(SALU_CYCLE_1) | instskip(NEXT) | instid1(SALU_CYCLE_1)
	s_lshl_b64 s[24:25], s[24:25], 4
	s_add_nc_u64 s[24:25], s[6:7], s[24:25]
	global_load_b128 v[2:5], v1, s[24:25]
	s_wait_loadcnt 0x0
	v_cmp_neq_f64_e32 vcc_lo, 0, v[2:3]
	v_cmp_neq_f64_e64 s0, 0, v[4:5]
	s_or_b32 s0, vcc_lo, s0
	s_delay_alu instid0(SALU_CYCLE_1)
	s_and_not1_b32 vcc_lo, exec_lo, s0
	s_cbranch_vccnz .LBB56_3
; %bb.5:                                ;   in Loop: Header=BB56_4 Depth=1
	s_load_b32 s0, s[18:19], 0xc
	s_wait_kmcnt 0x0
	s_and_b32 s0, s0, 0xffff
	s_delay_alu instid0(SALU_CYCLE_1) | instskip(SKIP_1) | instid1(VALU_DEP_1)
	v_mad_nc_u64_u32 v[6:7], s0, s1, v[0:1]
	s_mov_b32 s0, exec_lo
	v_cmpx_gt_u64_e64 s[4:5], v[6:7]
	s_cbranch_execz .LBB56_2
; %bb.6:                                ;   in Loop: Header=BB56_4 Depth=1
	v_lshlrev_b64_e32 v[8:9], 3, v[6:7]
	s_lshl_b64 s[24:25], s[2:3], 3
	s_delay_alu instid0(SALU_CYCLE_1) | instskip(SKIP_2) | instid1(VALU_DEP_1)
	s_add_nc_u64 s[26:27], s[10:11], s[24:25]
	s_add_nc_u64 s[24:25], s[12:13], s[24:25]
	s_load_b64 s[26:27], s[26:27], 0x0
	v_cvt_f64_u32_e32 v[10:11], v9
	s_delay_alu instid0(VALU_DEP_2) | instskip(NEXT) | instid1(VALU_DEP_1)
	v_or_b32_e32 v7, 1, v8
	v_cvt_f64_u32_e32 v[8:9], v7
	s_wait_kmcnt 0x0
	s_wait_xcnt 0x0
	s_add_nc_u64 s[26:27], s[26:27], s[20:21]
	s_delay_alu instid0(VALU_DEP_3) | instskip(NEXT) | instid1(VALU_DEP_1)
	v_ldexp_f64 v[10:11], v[10:11], 32
	v_add_f64_e32 v[8:9], v[10:11], v[8:9]
	s_delay_alu instid0(VALU_DEP_1) | instskip(SKIP_1) | instid1(VALU_DEP_1)
	v_cmp_gt_f64_e32 vcc_lo, 0x10000000, v[8:9]
	v_cndmask_b32_e64 v7, 0, 0x100, vcc_lo
	v_ldexp_f64 v[8:9], v[8:9], v7
	v_cndmask_b32_e64 v7, 0, 0xffffff80, vcc_lo
	s_delay_alu instid0(VALU_DEP_2) | instskip(SKIP_1) | instid1(TRANS32_DEP_1)
	v_rsq_f64_e32 v[10:11], v[8:9]
	v_cmp_class_f64_e64 vcc_lo, v[8:9], 0x260
	v_mul_f64_e32 v[12:13], v[8:9], v[10:11]
	v_mul_f64_e32 v[10:11], 0.5, v[10:11]
	s_delay_alu instid0(VALU_DEP_1) | instskip(NEXT) | instid1(VALU_DEP_1)
	v_fma_f64 v[14:15], -v[10:11], v[12:13], 0.5
	v_fmac_f64_e32 v[12:13], v[12:13], v[14:15]
	v_fmac_f64_e32 v[10:11], v[10:11], v[14:15]
	s_delay_alu instid0(VALU_DEP_2) | instskip(NEXT) | instid1(VALU_DEP_1)
	v_fma_f64 v[14:15], -v[12:13], v[12:13], v[8:9]
	v_fmac_f64_e32 v[12:13], v[14:15], v[10:11]
	s_delay_alu instid0(VALU_DEP_1) | instskip(NEXT) | instid1(VALU_DEP_1)
	v_fma_f64 v[14:15], -v[12:13], v[12:13], v[8:9]
	v_fmac_f64_e32 v[12:13], v[14:15], v[10:11]
	s_delay_alu instid0(VALU_DEP_1) | instskip(NEXT) | instid1(VALU_DEP_1)
	v_ldexp_f64 v[10:11], v[12:13], v7
	v_dual_cndmask_b32 v9, v11, v9 :: v_dual_cndmask_b32 v8, v10, v8
	s_delay_alu instid0(VALU_DEP_1) | instskip(NEXT) | instid1(VALU_DEP_1)
	v_add_f64_e32 v[8:9], -1.0, v[8:9]
	v_mul_f64_e32 v[8:9], 0.5, v[8:9]
	s_delay_alu instid0(VALU_DEP_1) | instskip(NEXT) | instid1(VALU_DEP_1)
	v_cvt_i32_f64_e32 v14, v[8:9]
	v_mad_u32 v7, v14, v14, v14
	s_delay_alu instid0(VALU_DEP_1) | instskip(NEXT) | instid1(VALU_DEP_1)
	v_dual_ashrrev_i32 v15, 31, v14 :: v_dual_lshrrev_b32 v8, 31, v7
	v_add_nc_u32_e32 v7, v7, v8
	s_delay_alu instid0(VALU_DEP_1) | instskip(NEXT) | instid1(VALU_DEP_1)
	v_ashrrev_i32_e32 v7, 1, v7
	v_sub_nc_u32_e32 v16, v6, v7
	s_clause 0x1
	flat_load_b128 v[6:9], v16, s[26:27] scale_offset
	flat_load_b128 v[10:13], v14, s[26:27] scale_offset
	s_wait_xcnt 0x0
	v_mul_u64_e32 v[14:15], s[16:17], v[14:15]
	s_load_b64 s[24:25], s[24:25], 0x0
	s_wait_kmcnt 0x0
	s_wait_xcnt 0x0
	s_add_nc_u64 s[24:25], s[24:25], s[14:15]
	s_delay_alu instid0(VALU_DEP_1) | instid1(SALU_CYCLE_1)
	v_lshl_add_u64 v[14:15], v[14:15], 4, s[24:25]
	s_wait_loadcnt_dscnt 0x101
	v_mul_f64_e32 v[20:21], v[2:3], v[8:9]
	v_mul_f64_e32 v[8:9], v[4:5], v[8:9]
	v_ashrrev_i32_e32 v17, 31, v16
	s_delay_alu instid0(VALU_DEP_3) | instskip(NEXT) | instid1(VALU_DEP_3)
	v_fmac_f64_e32 v[20:21], v[4:5], v[6:7]
	v_fma_f64 v[2:3], v[2:3], v[6:7], -v[8:9]
	s_delay_alu instid0(VALU_DEP_3) | instskip(SKIP_4) | instid1(VALU_DEP_2)
	v_lshl_add_u64 v[18:19], v[16:17], 4, v[14:15]
	flat_load_b128 v[14:17], v[18:19]
	s_wait_loadcnt_dscnt 0x101
	v_mul_f64_e32 v[4:5], v[12:13], v[20:21]
	v_mul_f64_e32 v[6:7], v[10:11], v[20:21]
	v_fma_f64 v[4:5], v[10:11], v[2:3], -v[4:5]
	s_delay_alu instid0(VALU_DEP_2) | instskip(SKIP_1) | instid1(VALU_DEP_2)
	v_fmac_f64_e32 v[6:7], v[12:13], v[2:3]
	s_wait_loadcnt_dscnt 0x0
	v_add_f64_e32 v[2:3], v[14:15], v[4:5]
	s_delay_alu instid0(VALU_DEP_2)
	v_add_f64_e32 v[4:5], v[6:7], v[16:17]
	flat_store_b128 v[18:19], v[2:5]
	s_branch .LBB56_2
.LBB56_7:
	s_endpgm
	.section	.rodata,"a",@progbits
	.p2align	6, 0x0
	.amdhsa_kernel _ZL23rocblas_syr_kernel_inc1ILb1ELi1024E19rocblas_complex_numIdEPKS1_PKS3_PKPS1_EvimT2_lT3_llT4_llli
		.amdhsa_group_segment_fixed_size 0
		.amdhsa_private_segment_fixed_size 0
		.amdhsa_kernarg_size 352
		.amdhsa_user_sgpr_count 2
		.amdhsa_user_sgpr_dispatch_ptr 0
		.amdhsa_user_sgpr_queue_ptr 0
		.amdhsa_user_sgpr_kernarg_segment_ptr 1
		.amdhsa_user_sgpr_dispatch_id 0
		.amdhsa_user_sgpr_kernarg_preload_length 0
		.amdhsa_user_sgpr_kernarg_preload_offset 0
		.amdhsa_user_sgpr_private_segment_size 0
		.amdhsa_wavefront_size32 1
		.amdhsa_uses_dynamic_stack 0
		.amdhsa_enable_private_segment 0
		.amdhsa_system_sgpr_workgroup_id_x 1
		.amdhsa_system_sgpr_workgroup_id_y 0
		.amdhsa_system_sgpr_workgroup_id_z 1
		.amdhsa_system_sgpr_workgroup_info 0
		.amdhsa_system_vgpr_workitem_id 0
		.amdhsa_next_free_vgpr 22
		.amdhsa_next_free_sgpr 28
		.amdhsa_named_barrier_count 0
		.amdhsa_reserve_vcc 1
		.amdhsa_float_round_mode_32 0
		.amdhsa_float_round_mode_16_64 0
		.amdhsa_float_denorm_mode_32 3
		.amdhsa_float_denorm_mode_16_64 3
		.amdhsa_fp16_overflow 0
		.amdhsa_memory_ordered 1
		.amdhsa_forward_progress 1
		.amdhsa_inst_pref_size 7
		.amdhsa_round_robin_scheduling 0
		.amdhsa_exception_fp_ieee_invalid_op 0
		.amdhsa_exception_fp_denorm_src 0
		.amdhsa_exception_fp_ieee_div_zero 0
		.amdhsa_exception_fp_ieee_overflow 0
		.amdhsa_exception_fp_ieee_underflow 0
		.amdhsa_exception_fp_ieee_inexact 0
		.amdhsa_exception_int_div_zero 0
	.end_amdhsa_kernel
	.section	.text._ZL23rocblas_syr_kernel_inc1ILb1ELi1024E19rocblas_complex_numIdEPKS1_PKS3_PKPS1_EvimT2_lT3_llT4_llli,"axG",@progbits,_ZL23rocblas_syr_kernel_inc1ILb1ELi1024E19rocblas_complex_numIdEPKS1_PKS3_PKPS1_EvimT2_lT3_llT4_llli,comdat
.Lfunc_end56:
	.size	_ZL23rocblas_syr_kernel_inc1ILb1ELi1024E19rocblas_complex_numIdEPKS1_PKS3_PKPS1_EvimT2_lT3_llT4_llli, .Lfunc_end56-_ZL23rocblas_syr_kernel_inc1ILb1ELi1024E19rocblas_complex_numIdEPKS1_PKS3_PKPS1_EvimT2_lT3_llT4_llli
                                        ; -- End function
	.set _ZL23rocblas_syr_kernel_inc1ILb1ELi1024E19rocblas_complex_numIdEPKS1_PKS3_PKPS1_EvimT2_lT3_llT4_llli.num_vgpr, 22
	.set _ZL23rocblas_syr_kernel_inc1ILb1ELi1024E19rocblas_complex_numIdEPKS1_PKS3_PKPS1_EvimT2_lT3_llT4_llli.num_agpr, 0
	.set _ZL23rocblas_syr_kernel_inc1ILb1ELi1024E19rocblas_complex_numIdEPKS1_PKS3_PKPS1_EvimT2_lT3_llT4_llli.numbered_sgpr, 28
	.set _ZL23rocblas_syr_kernel_inc1ILb1ELi1024E19rocblas_complex_numIdEPKS1_PKS3_PKPS1_EvimT2_lT3_llT4_llli.num_named_barrier, 0
	.set _ZL23rocblas_syr_kernel_inc1ILb1ELi1024E19rocblas_complex_numIdEPKS1_PKS3_PKPS1_EvimT2_lT3_llT4_llli.private_seg_size, 0
	.set _ZL23rocblas_syr_kernel_inc1ILb1ELi1024E19rocblas_complex_numIdEPKS1_PKS3_PKPS1_EvimT2_lT3_llT4_llli.uses_vcc, 1
	.set _ZL23rocblas_syr_kernel_inc1ILb1ELi1024E19rocblas_complex_numIdEPKS1_PKS3_PKPS1_EvimT2_lT3_llT4_llli.uses_flat_scratch, 1
	.set _ZL23rocblas_syr_kernel_inc1ILb1ELi1024E19rocblas_complex_numIdEPKS1_PKS3_PKPS1_EvimT2_lT3_llT4_llli.has_dyn_sized_stack, 0
	.set _ZL23rocblas_syr_kernel_inc1ILb1ELi1024E19rocblas_complex_numIdEPKS1_PKS3_PKPS1_EvimT2_lT3_llT4_llli.has_recursion, 0
	.set _ZL23rocblas_syr_kernel_inc1ILb1ELi1024E19rocblas_complex_numIdEPKS1_PKS3_PKPS1_EvimT2_lT3_llT4_llli.has_indirect_call, 0
	.section	.AMDGPU.csdata,"",@progbits
; Kernel info:
; codeLenInByte = 772
; TotalNumSgprs: 30
; NumVgprs: 22
; ScratchSize: 0
; MemoryBound: 0
; FloatMode: 240
; IeeeMode: 1
; LDSByteSize: 0 bytes/workgroup (compile time only)
; SGPRBlocks: 0
; VGPRBlocks: 1
; NumSGPRsForWavesPerEU: 30
; NumVGPRsForWavesPerEU: 22
; NamedBarCnt: 0
; Occupancy: 16
; WaveLimiterHint : 1
; COMPUTE_PGM_RSRC2:SCRATCH_EN: 0
; COMPUTE_PGM_RSRC2:USER_SGPR: 2
; COMPUTE_PGM_RSRC2:TRAP_HANDLER: 0
; COMPUTE_PGM_RSRC2:TGID_X_EN: 1
; COMPUTE_PGM_RSRC2:TGID_Y_EN: 0
; COMPUTE_PGM_RSRC2:TGID_Z_EN: 1
; COMPUTE_PGM_RSRC2:TIDIG_COMP_CNT: 0
	.section	.text._ZL18rocblas_syr_kernelILb1ELi1024E19rocblas_complex_numIdEPKS1_PKS3_PKPS1_EvimT2_lT3_lllT4_llli,"axG",@progbits,_ZL18rocblas_syr_kernelILb1ELi1024E19rocblas_complex_numIdEPKS1_PKS3_PKPS1_EvimT2_lT3_lllT4_llli,comdat
	.globl	_ZL18rocblas_syr_kernelILb1ELi1024E19rocblas_complex_numIdEPKS1_PKS3_PKPS1_EvimT2_lT3_lllT4_llli ; -- Begin function _ZL18rocblas_syr_kernelILb1ELi1024E19rocblas_complex_numIdEPKS1_PKS3_PKPS1_EvimT2_lT3_lllT4_llli
	.p2align	8
	.type	_ZL18rocblas_syr_kernelILb1ELi1024E19rocblas_complex_numIdEPKS1_PKS3_PKPS1_EvimT2_lT3_lllT4_llli,@function
_ZL18rocblas_syr_kernelILb1ELi1024E19rocblas_complex_numIdEPKS1_PKS3_PKPS1_EvimT2_lT3_lllT4_llli: ; @_ZL18rocblas_syr_kernelILb1ELi1024E19rocblas_complex_numIdEPKS1_PKS3_PKPS1_EvimT2_lT3_lllT4_llli
; %bb.0:
	s_load_b32 s24, s[0:1], 0x60
	s_bfe_u32 s2, ttmp6, 0x40014
	s_lshr_b32 s3, ttmp7, 16
	s_add_co_i32 s2, s2, 1
	s_bfe_u32 s4, ttmp6, 0x40008
	s_mul_i32 s2, s3, s2
	s_getreg_b32 s25, hwreg(HW_REG_IB_STS2, 6, 4)
	s_add_co_i32 s4, s4, s2
	s_cmp_eq_u32 s25, 0
	s_cselect_b32 s2, s3, s4
	s_mov_b32 s3, 0
	s_wait_kmcnt 0x0
	s_cmp_ge_u32 s2, s24
	s_cbranch_scc1 .LBB57_7
; %bb.1:
	s_clause 0x3
	s_load_b128 s[12:15], s[0:1], 0x40
	s_load_b128 s[16:19], s[0:1], 0x28
	s_load_b256 s[4:11], s[0:1], 0x8
	s_load_b64 s[20:21], s[0:1], 0x50
	s_bfe_u32 s22, ttmp6, 0x4000c
	s_and_b32 s26, ttmp6, 15
	s_add_co_i32 s22, s22, 1
	v_mov_b32_e32 v1, 0
	s_mul_i32 s27, ttmp9, s22
	s_add_nc_u64 s[22:23], s[0:1], 0x68
	s_add_co_i32 s26, s26, s27
	s_cmp_eq_u32 s25, 0
	s_wait_xcnt 0x0
	s_cselect_b32 s1, ttmp9, s26
	s_wait_kmcnt 0x0
	s_lshl_b64 s[14:15], s[14:15], 4
	s_lshl_b64 s[16:17], s[16:17], 4
	s_branch .LBB57_4
.LBB57_2:                               ;   in Loop: Header=BB57_4 Depth=1
	s_wait_xcnt 0x0
	s_or_b32 exec_lo, exec_lo, s0
.LBB57_3:                               ;   in Loop: Header=BB57_4 Depth=1
	s_add_co_i32 s2, s2, 0x10000
	s_delay_alu instid0(SALU_CYCLE_1)
	s_cmp_lt_u32 s2, s24
	s_cbranch_scc0 .LBB57_7
.LBB57_4:                               ; =>This Inner Loop Header: Depth=1
	s_wait_xcnt 0x0
	s_mul_u64 s[26:27], s[8:9], s[2:3]
	s_delay_alu instid0(SALU_CYCLE_1) | instskip(NEXT) | instid1(SALU_CYCLE_1)
	s_lshl_b64 s[26:27], s[26:27], 4
	s_add_nc_u64 s[26:27], s[6:7], s[26:27]
	global_load_b128 v[2:5], v1, s[26:27]
	s_wait_loadcnt 0x0
	v_cmp_neq_f64_e32 vcc_lo, 0, v[2:3]
	v_cmp_neq_f64_e64 s0, 0, v[4:5]
	s_or_b32 s0, vcc_lo, s0
	s_delay_alu instid0(SALU_CYCLE_1)
	s_and_not1_b32 vcc_lo, exec_lo, s0
	s_cbranch_vccnz .LBB57_3
; %bb.5:                                ;   in Loop: Header=BB57_4 Depth=1
	s_load_b32 s0, s[22:23], 0xc
	s_wait_kmcnt 0x0
	s_and_b32 s0, s0, 0xffff
	s_delay_alu instid0(SALU_CYCLE_1) | instskip(SKIP_1) | instid1(VALU_DEP_1)
	v_mad_nc_u64_u32 v[6:7], s0, s1, v[0:1]
	s_mov_b32 s0, exec_lo
	v_cmpx_gt_u64_e64 s[4:5], v[6:7]
	s_cbranch_execz .LBB57_2
; %bb.6:                                ;   in Loop: Header=BB57_4 Depth=1
	v_lshlrev_b64_e32 v[8:9], 3, v[6:7]
	s_lshl_b64 s[26:27], s[2:3], 3
	s_delay_alu instid0(SALU_CYCLE_1) | instskip(SKIP_2) | instid1(VALU_DEP_1)
	s_add_nc_u64 s[28:29], s[10:11], s[26:27]
	s_add_nc_u64 s[26:27], s[12:13], s[26:27]
	s_load_b64 s[28:29], s[28:29], 0x0
	v_cvt_f64_u32_e32 v[10:11], v9
	s_delay_alu instid0(VALU_DEP_2) | instskip(SKIP_1) | instid1(VALU_DEP_1)
	v_or_b32_e32 v7, 1, v8
	s_load_b64 s[26:27], s[26:27], 0x0
	v_cvt_f64_u32_e32 v[8:9], v7
	s_wait_kmcnt 0x0
	s_wait_xcnt 0x0
	s_add_nc_u64 s[28:29], s[28:29], s[16:17]
	s_add_nc_u64 s[26:27], s[26:27], s[14:15]
	s_delay_alu instid0(VALU_DEP_3) | instskip(NEXT) | instid1(VALU_DEP_1)
	v_ldexp_f64 v[10:11], v[10:11], 32
	v_add_f64_e32 v[8:9], v[10:11], v[8:9]
	s_delay_alu instid0(VALU_DEP_1) | instskip(SKIP_1) | instid1(VALU_DEP_1)
	v_cmp_gt_f64_e32 vcc_lo, 0x10000000, v[8:9]
	v_cndmask_b32_e64 v7, 0, 0x100, vcc_lo
	v_ldexp_f64 v[8:9], v[8:9], v7
	v_cndmask_b32_e64 v7, 0, 0xffffff80, vcc_lo
	s_delay_alu instid0(VALU_DEP_2) | instskip(SKIP_1) | instid1(TRANS32_DEP_1)
	v_rsq_f64_e32 v[10:11], v[8:9]
	v_cmp_class_f64_e64 vcc_lo, v[8:9], 0x260
	v_mul_f64_e32 v[12:13], v[8:9], v[10:11]
	v_mul_f64_e32 v[10:11], 0.5, v[10:11]
	s_delay_alu instid0(VALU_DEP_1) | instskip(NEXT) | instid1(VALU_DEP_1)
	v_fma_f64 v[14:15], -v[10:11], v[12:13], 0.5
	v_fmac_f64_e32 v[12:13], v[12:13], v[14:15]
	v_fmac_f64_e32 v[10:11], v[10:11], v[14:15]
	s_delay_alu instid0(VALU_DEP_2) | instskip(NEXT) | instid1(VALU_DEP_1)
	v_fma_f64 v[14:15], -v[12:13], v[12:13], v[8:9]
	v_fmac_f64_e32 v[12:13], v[14:15], v[10:11]
	s_delay_alu instid0(VALU_DEP_1) | instskip(NEXT) | instid1(VALU_DEP_1)
	v_fma_f64 v[14:15], -v[12:13], v[12:13], v[8:9]
	v_fmac_f64_e32 v[12:13], v[14:15], v[10:11]
	s_delay_alu instid0(VALU_DEP_1) | instskip(NEXT) | instid1(VALU_DEP_1)
	v_ldexp_f64 v[10:11], v[12:13], v7
	v_dual_cndmask_b32 v9, v11, v9 :: v_dual_cndmask_b32 v8, v10, v8
	s_delay_alu instid0(VALU_DEP_1) | instskip(NEXT) | instid1(VALU_DEP_1)
	v_add_f64_e32 v[8:9], -1.0, v[8:9]
	v_mul_f64_e32 v[8:9], 0.5, v[8:9]
	s_delay_alu instid0(VALU_DEP_1) | instskip(NEXT) | instid1(VALU_DEP_1)
	v_cvt_i32_f64_e32 v14, v[8:9]
	v_mad_u32 v7, v14, v14, v14
	v_ashrrev_i32_e32 v15, 31, v14
	s_delay_alu instid0(VALU_DEP_1) | instskip(SKIP_1) | instid1(VALU_DEP_4)
	v_mul_u64_e32 v[10:11], s[18:19], v[14:15]
	v_mul_u64_e32 v[14:15], s[20:21], v[14:15]
	v_lshrrev_b32_e32 v8, 31, v7
	s_delay_alu instid0(VALU_DEP_1) | instskip(NEXT) | instid1(VALU_DEP_1)
	v_add_nc_u32_e32 v7, v7, v8
	v_ashrrev_i32_e32 v7, 1, v7
	s_delay_alu instid0(VALU_DEP_1) | instskip(NEXT) | instid1(VALU_DEP_1)
	v_sub_nc_u32_e32 v16, v6, v7
	v_ashrrev_i32_e32 v17, 31, v16
	s_delay_alu instid0(VALU_DEP_1)
	v_mul_u64_e32 v[6:7], s[18:19], v[16:17]
	v_lshl_add_u64 v[10:11], v[10:11], 4, s[28:29]
	v_lshl_add_u64 v[14:15], v[14:15], 4, s[26:27]
	flat_load_b128 v[10:13], v[10:11]
	v_lshl_add_u64 v[6:7], v[6:7], 4, s[28:29]
	flat_load_b128 v[6:9], v[6:7]
	s_wait_loadcnt_dscnt 0x0
	v_mul_f64_e32 v[20:21], v[2:3], v[8:9]
	v_mul_f64_e32 v[8:9], v[4:5], v[8:9]
	s_delay_alu instid0(VALU_DEP_2) | instskip(NEXT) | instid1(VALU_DEP_2)
	v_fmac_f64_e32 v[20:21], v[4:5], v[6:7]
	v_fma_f64 v[2:3], v[2:3], v[6:7], -v[8:9]
	v_lshl_add_u64 v[18:19], v[16:17], 4, v[14:15]
	flat_load_b128 v[14:17], v[18:19]
	v_mul_f64_e32 v[4:5], v[12:13], v[20:21]
	s_wait_xcnt 0x1
	v_mul_f64_e32 v[6:7], v[10:11], v[20:21]
	s_delay_alu instid0(VALU_DEP_2) | instskip(NEXT) | instid1(VALU_DEP_2)
	v_fma_f64 v[4:5], v[10:11], v[2:3], -v[4:5]
	v_fmac_f64_e32 v[6:7], v[12:13], v[2:3]
	s_wait_loadcnt_dscnt 0x0
	s_delay_alu instid0(VALU_DEP_2) | instskip(NEXT) | instid1(VALU_DEP_2)
	v_add_f64_e32 v[2:3], v[14:15], v[4:5]
	v_add_f64_e32 v[4:5], v[6:7], v[16:17]
	flat_store_b128 v[18:19], v[2:5]
	s_branch .LBB57_2
.LBB57_7:
	s_endpgm
	.section	.rodata,"a",@progbits
	.p2align	6, 0x0
	.amdhsa_kernel _ZL18rocblas_syr_kernelILb1ELi1024E19rocblas_complex_numIdEPKS1_PKS3_PKPS1_EvimT2_lT3_lllT4_llli
		.amdhsa_group_segment_fixed_size 0
		.amdhsa_private_segment_fixed_size 0
		.amdhsa_kernarg_size 360
		.amdhsa_user_sgpr_count 2
		.amdhsa_user_sgpr_dispatch_ptr 0
		.amdhsa_user_sgpr_queue_ptr 0
		.amdhsa_user_sgpr_kernarg_segment_ptr 1
		.amdhsa_user_sgpr_dispatch_id 0
		.amdhsa_user_sgpr_kernarg_preload_length 0
		.amdhsa_user_sgpr_kernarg_preload_offset 0
		.amdhsa_user_sgpr_private_segment_size 0
		.amdhsa_wavefront_size32 1
		.amdhsa_uses_dynamic_stack 0
		.amdhsa_enable_private_segment 0
		.amdhsa_system_sgpr_workgroup_id_x 1
		.amdhsa_system_sgpr_workgroup_id_y 0
		.amdhsa_system_sgpr_workgroup_id_z 1
		.amdhsa_system_sgpr_workgroup_info 0
		.amdhsa_system_vgpr_workitem_id 0
		.amdhsa_next_free_vgpr 22
		.amdhsa_next_free_sgpr 30
		.amdhsa_named_barrier_count 0
		.amdhsa_reserve_vcc 1
		.amdhsa_float_round_mode_32 0
		.amdhsa_float_round_mode_16_64 0
		.amdhsa_float_denorm_mode_32 3
		.amdhsa_float_denorm_mode_16_64 3
		.amdhsa_fp16_overflow 0
		.amdhsa_memory_ordered 1
		.amdhsa_forward_progress 1
		.amdhsa_inst_pref_size 7
		.amdhsa_round_robin_scheduling 0
		.amdhsa_exception_fp_ieee_invalid_op 0
		.amdhsa_exception_fp_denorm_src 0
		.amdhsa_exception_fp_ieee_div_zero 0
		.amdhsa_exception_fp_ieee_overflow 0
		.amdhsa_exception_fp_ieee_underflow 0
		.amdhsa_exception_fp_ieee_inexact 0
		.amdhsa_exception_int_div_zero 0
	.end_amdhsa_kernel
	.section	.text._ZL18rocblas_syr_kernelILb1ELi1024E19rocblas_complex_numIdEPKS1_PKS3_PKPS1_EvimT2_lT3_lllT4_llli,"axG",@progbits,_ZL18rocblas_syr_kernelILb1ELi1024E19rocblas_complex_numIdEPKS1_PKS3_PKPS1_EvimT2_lT3_lllT4_llli,comdat
.Lfunc_end57:
	.size	_ZL18rocblas_syr_kernelILb1ELi1024E19rocblas_complex_numIdEPKS1_PKS3_PKPS1_EvimT2_lT3_lllT4_llli, .Lfunc_end57-_ZL18rocblas_syr_kernelILb1ELi1024E19rocblas_complex_numIdEPKS1_PKS3_PKPS1_EvimT2_lT3_lllT4_llli
                                        ; -- End function
	.set _ZL18rocblas_syr_kernelILb1ELi1024E19rocblas_complex_numIdEPKS1_PKS3_PKPS1_EvimT2_lT3_lllT4_llli.num_vgpr, 22
	.set _ZL18rocblas_syr_kernelILb1ELi1024E19rocblas_complex_numIdEPKS1_PKS3_PKPS1_EvimT2_lT3_lllT4_llli.num_agpr, 0
	.set _ZL18rocblas_syr_kernelILb1ELi1024E19rocblas_complex_numIdEPKS1_PKS3_PKPS1_EvimT2_lT3_lllT4_llli.numbered_sgpr, 30
	.set _ZL18rocblas_syr_kernelILb1ELi1024E19rocblas_complex_numIdEPKS1_PKS3_PKPS1_EvimT2_lT3_lllT4_llli.num_named_barrier, 0
	.set _ZL18rocblas_syr_kernelILb1ELi1024E19rocblas_complex_numIdEPKS1_PKS3_PKPS1_EvimT2_lT3_lllT4_llli.private_seg_size, 0
	.set _ZL18rocblas_syr_kernelILb1ELi1024E19rocblas_complex_numIdEPKS1_PKS3_PKPS1_EvimT2_lT3_lllT4_llli.uses_vcc, 1
	.set _ZL18rocblas_syr_kernelILb1ELi1024E19rocblas_complex_numIdEPKS1_PKS3_PKPS1_EvimT2_lT3_lllT4_llli.uses_flat_scratch, 0
	.set _ZL18rocblas_syr_kernelILb1ELi1024E19rocblas_complex_numIdEPKS1_PKS3_PKPS1_EvimT2_lT3_lllT4_llli.has_dyn_sized_stack, 0
	.set _ZL18rocblas_syr_kernelILb1ELi1024E19rocblas_complex_numIdEPKS1_PKS3_PKPS1_EvimT2_lT3_lllT4_llli.has_recursion, 0
	.set _ZL18rocblas_syr_kernelILb1ELi1024E19rocblas_complex_numIdEPKS1_PKS3_PKPS1_EvimT2_lT3_lllT4_llli.has_indirect_call, 0
	.section	.AMDGPU.csdata,"",@progbits
; Kernel info:
; codeLenInByte = 776
; TotalNumSgprs: 32
; NumVgprs: 22
; ScratchSize: 0
; MemoryBound: 0
; FloatMode: 240
; IeeeMode: 1
; LDSByteSize: 0 bytes/workgroup (compile time only)
; SGPRBlocks: 0
; VGPRBlocks: 1
; NumSGPRsForWavesPerEU: 32
; NumVGPRsForWavesPerEU: 22
; NamedBarCnt: 0
; Occupancy: 16
; WaveLimiterHint : 1
; COMPUTE_PGM_RSRC2:SCRATCH_EN: 0
; COMPUTE_PGM_RSRC2:USER_SGPR: 2
; COMPUTE_PGM_RSRC2:TRAP_HANDLER: 0
; COMPUTE_PGM_RSRC2:TGID_X_EN: 1
; COMPUTE_PGM_RSRC2:TGID_Y_EN: 0
; COMPUTE_PGM_RSRC2:TGID_Z_EN: 1
; COMPUTE_PGM_RSRC2:TIDIG_COMP_CNT: 0
	.section	.text._ZL23rocblas_syr_kernel_inc1ILb0ELi1024E19rocblas_complex_numIdEPKS1_PKS3_PKPS1_EvimT2_lT3_llT4_llli,"axG",@progbits,_ZL23rocblas_syr_kernel_inc1ILb0ELi1024E19rocblas_complex_numIdEPKS1_PKS3_PKPS1_EvimT2_lT3_llT4_llli,comdat
	.globl	_ZL23rocblas_syr_kernel_inc1ILb0ELi1024E19rocblas_complex_numIdEPKS1_PKS3_PKPS1_EvimT2_lT3_llT4_llli ; -- Begin function _ZL23rocblas_syr_kernel_inc1ILb0ELi1024E19rocblas_complex_numIdEPKS1_PKS3_PKPS1_EvimT2_lT3_llT4_llli
	.p2align	8
	.type	_ZL23rocblas_syr_kernel_inc1ILb0ELi1024E19rocblas_complex_numIdEPKS1_PKS3_PKPS1_EvimT2_lT3_llT4_llli,@function
_ZL23rocblas_syr_kernel_inc1ILb0ELi1024E19rocblas_complex_numIdEPKS1_PKS3_PKPS1_EvimT2_lT3_llT4_llli: ; @_ZL23rocblas_syr_kernel_inc1ILb0ELi1024E19rocblas_complex_numIdEPKS1_PKS3_PKPS1_EvimT2_lT3_llT4_llli
; %bb.0:
	s_load_b32 s24, s[0:1], 0x58
	s_bfe_u32 s2, ttmp6, 0x40014
	s_lshr_b32 s3, ttmp7, 16
	s_add_co_i32 s2, s2, 1
	s_bfe_u32 s4, ttmp6, 0x40008
	s_mul_i32 s2, s3, s2
	s_getreg_b32 s22, hwreg(HW_REG_IB_STS2, 6, 4)
	s_add_co_i32 s4, s4, s2
	s_cmp_eq_u32 s22, 0
	s_cselect_b32 s2, s3, s4
	s_mov_b32 s3, 0
	s_wait_kmcnt 0x0
	s_cmp_ge_u32 s2, s24
	s_cbranch_scc1 .LBB58_7
; %bb.1:
	s_clause 0x4
	s_load_b32 s16, s[0:1], 0x0
	s_load_b128 s[12:15], s[0:1], 0x38
	s_load_b64 s[26:27], s[0:1], 0x28
	s_load_b256 s[4:11], s[0:1], 0x8
	s_load_b64 s[18:19], s[0:1], 0x48
	s_bfe_u32 s17, ttmp6, 0x4000c
	s_and_b32 s23, ttmp6, 15
	s_add_co_i32 s17, s17, 1
	v_mov_b32_e32 v1, 0
	s_mul_i32 s17, ttmp9, s17
	s_add_nc_u64 s[20:21], s[0:1], 0x60
	s_add_co_i32 s23, s23, s17
	s_wait_kmcnt 0x0
	s_ashr_i32 s17, s16, 31
	s_cmp_eq_u32 s22, 0
	s_cselect_b32 s1, ttmp9, s23
	s_add_co_i32 s25, s16, -1
	s_lshl_b64 s[14:15], s[14:15], 4
	s_lshl_b64 s[22:23], s[26:27], 4
	s_branch .LBB58_4
.LBB58_2:                               ;   in Loop: Header=BB58_4 Depth=1
	s_wait_xcnt 0x0
	s_or_b32 exec_lo, exec_lo, s0
.LBB58_3:                               ;   in Loop: Header=BB58_4 Depth=1
	s_add_co_i32 s2, s2, 0x10000
	s_delay_alu instid0(SALU_CYCLE_1)
	s_cmp_lt_u32 s2, s24
	s_cbranch_scc0 .LBB58_7
.LBB58_4:                               ; =>This Inner Loop Header: Depth=1
	s_wait_xcnt 0x0
	s_mul_u64 s[26:27], s[8:9], s[2:3]
	s_delay_alu instid0(SALU_CYCLE_1) | instskip(NEXT) | instid1(SALU_CYCLE_1)
	s_lshl_b64 s[26:27], s[26:27], 4
	s_add_nc_u64 s[26:27], s[6:7], s[26:27]
	global_load_b128 v[2:5], v1, s[26:27]
	s_wait_loadcnt 0x0
	v_cmp_neq_f64_e32 vcc_lo, 0, v[2:3]
	v_cmp_neq_f64_e64 s0, 0, v[4:5]
	s_or_b32 s0, vcc_lo, s0
	s_delay_alu instid0(SALU_CYCLE_1)
	s_and_not1_b32 vcc_lo, exec_lo, s0
	s_cbranch_vccnz .LBB58_3
; %bb.5:                                ;   in Loop: Header=BB58_4 Depth=1
	s_load_b32 s0, s[20:21], 0xc
	s_wait_kmcnt 0x0
	s_and_b32 s0, s0, 0xffff
	s_delay_alu instid0(SALU_CYCLE_1) | instskip(SKIP_1) | instid1(VALU_DEP_1)
	v_mad_nc_u64_u32 v[6:7], s0, s1, v[0:1]
	s_mov_b32 s0, exec_lo
	v_cmpx_gt_u64_e64 s[4:5], v[6:7]
	s_cbranch_execz .LBB58_2
; %bb.6:                                ;   in Loop: Header=BB58_4 Depth=1
	v_not_b32_e32 v7, v7
	v_not_b32_e32 v6, v6
	s_lshl_b64 s[26:27], s[2:3], 3
	s_delay_alu instid0(SALU_CYCLE_1) | instskip(SKIP_1) | instid1(VALU_DEP_1)
	s_add_nc_u64 s[28:29], s[10:11], s[26:27]
	s_add_nc_u64 s[26:27], s[12:13], s[26:27]
	v_add_nc_u64_e32 v[6:7], s[4:5], v[6:7]
	s_load_b64 s[28:29], s[28:29], 0x0
	s_delay_alu instid0(VALU_DEP_1) | instskip(SKIP_2) | instid1(VALU_DEP_2)
	v_lshlrev_b64_e32 v[8:9], 3, v[6:7]
	s_load_b64 s[26:27], s[26:27], 0x0
	v_sub_nc_u32_e32 v6, s25, v6
	v_cvt_f64_u32_e32 v[10:11], v9
	s_delay_alu instid0(VALU_DEP_3) | instskip(NEXT) | instid1(VALU_DEP_1)
	v_or_b32_e32 v7, 1, v8
	v_cvt_f64_u32_e32 v[8:9], v7
	s_wait_kmcnt 0x0
	s_wait_xcnt 0x0
	s_add_nc_u64 s[28:29], s[28:29], s[22:23]
	s_add_nc_u64 s[26:27], s[26:27], s[14:15]
	s_delay_alu instid0(VALU_DEP_3) | instskip(NEXT) | instid1(VALU_DEP_1)
	v_ldexp_f64 v[10:11], v[10:11], 32
	v_add_f64_e32 v[8:9], v[10:11], v[8:9]
	s_delay_alu instid0(VALU_DEP_1) | instskip(SKIP_1) | instid1(VALU_DEP_1)
	v_cmp_gt_f64_e32 vcc_lo, 0x10000000, v[8:9]
	v_cndmask_b32_e64 v7, 0, 0x100, vcc_lo
	v_ldexp_f64 v[8:9], v[8:9], v7
	v_cndmask_b32_e64 v7, 0, 0xffffff80, vcc_lo
	s_delay_alu instid0(VALU_DEP_2) | instskip(SKIP_1) | instid1(TRANS32_DEP_1)
	v_rsq_f64_e32 v[10:11], v[8:9]
	v_cmp_class_f64_e64 vcc_lo, v[8:9], 0x260
	v_mul_f64_e32 v[12:13], v[8:9], v[10:11]
	v_mul_f64_e32 v[10:11], 0.5, v[10:11]
	s_delay_alu instid0(VALU_DEP_1) | instskip(NEXT) | instid1(VALU_DEP_1)
	v_fma_f64 v[14:15], -v[10:11], v[12:13], 0.5
	v_fmac_f64_e32 v[12:13], v[12:13], v[14:15]
	v_fmac_f64_e32 v[10:11], v[10:11], v[14:15]
	s_delay_alu instid0(VALU_DEP_2) | instskip(NEXT) | instid1(VALU_DEP_1)
	v_fma_f64 v[14:15], -v[12:13], v[12:13], v[8:9]
	v_fmac_f64_e32 v[12:13], v[14:15], v[10:11]
	s_delay_alu instid0(VALU_DEP_1) | instskip(NEXT) | instid1(VALU_DEP_1)
	v_fma_f64 v[14:15], -v[12:13], v[12:13], v[8:9]
	v_fmac_f64_e32 v[12:13], v[14:15], v[10:11]
	s_delay_alu instid0(VALU_DEP_1) | instskip(NEXT) | instid1(VALU_DEP_1)
	v_ldexp_f64 v[10:11], v[12:13], v7
	v_dual_cndmask_b32 v9, v11, v9 :: v_dual_cndmask_b32 v8, v10, v8
	s_delay_alu instid0(VALU_DEP_1) | instskip(NEXT) | instid1(VALU_DEP_1)
	v_add_f64_e32 v[8:9], -1.0, v[8:9]
	v_mul_f64_e32 v[8:9], 0.5, v[8:9]
	s_delay_alu instid0(VALU_DEP_1) | instskip(NEXT) | instid1(VALU_DEP_1)
	v_cvt_i32_f64_e32 v14, v[8:9]
	v_mad_u32 v7, v14, v14, v14
	v_ashrrev_i32_e32 v15, 31, v14
	s_delay_alu instid0(VALU_DEP_1) | instskip(NEXT) | instid1(VALU_DEP_3)
	v_sub_nc_u64_e32 v[10:11], s[16:17], v[14:15]
	v_lshrrev_b32_e32 v8, 31, v7
	s_delay_alu instid0(VALU_DEP_2) | instskip(NEXT) | instid1(VALU_DEP_2)
	v_lshl_add_u64 v[10:11], v[10:11], 4, s[28:29]
	v_add_nc_u32_e32 v7, v7, v8
	flat_load_b128 v[10:13], v[10:11] offset:-16
	v_ashrrev_i32_e32 v7, 1, v7
	s_delay_alu instid0(VALU_DEP_1) | instskip(NEXT) | instid1(VALU_DEP_1)
	v_dual_add_nc_u32 v16, v6, v7 :: v_dual_sub_nc_u32 v14, s25, v14
	v_ashrrev_i32_e32 v17, 31, v16
	flat_load_b128 v[6:9], v16, s[28:29] scale_offset
	s_wait_loadcnt_dscnt 0x0
	v_dual_mul_f64 v[20:21], v[2:3], v[8:9] :: v_dual_ashrrev_i32 v15, 31, v14
	s_delay_alu instid0(VALU_DEP_1) | instskip(SKIP_1) | instid1(VALU_DEP_3)
	v_mul_u64_e32 v[14:15], s[18:19], v[14:15]
	v_mul_f64_e32 v[8:9], v[4:5], v[8:9]
	v_fmac_f64_e32 v[20:21], v[4:5], v[6:7]
	s_delay_alu instid0(VALU_DEP_3) | instskip(NEXT) | instid1(VALU_DEP_3)
	v_lshl_add_u64 v[14:15], v[14:15], 4, s[26:27]
	v_fma_f64 v[2:3], v[2:3], v[6:7], -v[8:9]
	s_delay_alu instid0(VALU_DEP_2) | instskip(SKIP_3) | instid1(VALU_DEP_2)
	v_lshl_add_u64 v[18:19], v[16:17], 4, v[14:15]
	flat_load_b128 v[14:17], v[18:19]
	v_mul_f64_e32 v[4:5], v[12:13], v[20:21]
	v_mul_f64_e32 v[6:7], v[10:11], v[20:21]
	v_fma_f64 v[4:5], v[10:11], v[2:3], -v[4:5]
	s_delay_alu instid0(VALU_DEP_2) | instskip(SKIP_1) | instid1(VALU_DEP_2)
	v_fmac_f64_e32 v[6:7], v[12:13], v[2:3]
	s_wait_loadcnt_dscnt 0x0
	v_add_f64_e32 v[2:3], v[14:15], v[4:5]
	s_delay_alu instid0(VALU_DEP_2)
	v_add_f64_e32 v[4:5], v[6:7], v[16:17]
	flat_store_b128 v[18:19], v[2:5]
	s_branch .LBB58_2
.LBB58_7:
	s_endpgm
	.section	.rodata,"a",@progbits
	.p2align	6, 0x0
	.amdhsa_kernel _ZL23rocblas_syr_kernel_inc1ILb0ELi1024E19rocblas_complex_numIdEPKS1_PKS3_PKPS1_EvimT2_lT3_llT4_llli
		.amdhsa_group_segment_fixed_size 0
		.amdhsa_private_segment_fixed_size 0
		.amdhsa_kernarg_size 352
		.amdhsa_user_sgpr_count 2
		.amdhsa_user_sgpr_dispatch_ptr 0
		.amdhsa_user_sgpr_queue_ptr 0
		.amdhsa_user_sgpr_kernarg_segment_ptr 1
		.amdhsa_user_sgpr_dispatch_id 0
		.amdhsa_user_sgpr_kernarg_preload_length 0
		.amdhsa_user_sgpr_kernarg_preload_offset 0
		.amdhsa_user_sgpr_private_segment_size 0
		.amdhsa_wavefront_size32 1
		.amdhsa_uses_dynamic_stack 0
		.amdhsa_enable_private_segment 0
		.amdhsa_system_sgpr_workgroup_id_x 1
		.amdhsa_system_sgpr_workgroup_id_y 0
		.amdhsa_system_sgpr_workgroup_id_z 1
		.amdhsa_system_sgpr_workgroup_info 0
		.amdhsa_system_vgpr_workitem_id 0
		.amdhsa_next_free_vgpr 22
		.amdhsa_next_free_sgpr 30
		.amdhsa_named_barrier_count 0
		.amdhsa_reserve_vcc 1
		.amdhsa_float_round_mode_32 0
		.amdhsa_float_round_mode_16_64 0
		.amdhsa_float_denorm_mode_32 3
		.amdhsa_float_denorm_mode_16_64 3
		.amdhsa_fp16_overflow 0
		.amdhsa_memory_ordered 1
		.amdhsa_forward_progress 1
		.amdhsa_inst_pref_size 7
		.amdhsa_round_robin_scheduling 0
		.amdhsa_exception_fp_ieee_invalid_op 0
		.amdhsa_exception_fp_denorm_src 0
		.amdhsa_exception_fp_ieee_div_zero 0
		.amdhsa_exception_fp_ieee_overflow 0
		.amdhsa_exception_fp_ieee_underflow 0
		.amdhsa_exception_fp_ieee_inexact 0
		.amdhsa_exception_int_div_zero 0
	.end_amdhsa_kernel
	.section	.text._ZL23rocblas_syr_kernel_inc1ILb0ELi1024E19rocblas_complex_numIdEPKS1_PKS3_PKPS1_EvimT2_lT3_llT4_llli,"axG",@progbits,_ZL23rocblas_syr_kernel_inc1ILb0ELi1024E19rocblas_complex_numIdEPKS1_PKS3_PKPS1_EvimT2_lT3_llT4_llli,comdat
.Lfunc_end58:
	.size	_ZL23rocblas_syr_kernel_inc1ILb0ELi1024E19rocblas_complex_numIdEPKS1_PKS3_PKPS1_EvimT2_lT3_llT4_llli, .Lfunc_end58-_ZL23rocblas_syr_kernel_inc1ILb0ELi1024E19rocblas_complex_numIdEPKS1_PKS3_PKPS1_EvimT2_lT3_llT4_llli
                                        ; -- End function
	.set _ZL23rocblas_syr_kernel_inc1ILb0ELi1024E19rocblas_complex_numIdEPKS1_PKS3_PKPS1_EvimT2_lT3_llT4_llli.num_vgpr, 22
	.set _ZL23rocblas_syr_kernel_inc1ILb0ELi1024E19rocblas_complex_numIdEPKS1_PKS3_PKPS1_EvimT2_lT3_llT4_llli.num_agpr, 0
	.set _ZL23rocblas_syr_kernel_inc1ILb0ELi1024E19rocblas_complex_numIdEPKS1_PKS3_PKPS1_EvimT2_lT3_llT4_llli.numbered_sgpr, 30
	.set _ZL23rocblas_syr_kernel_inc1ILb0ELi1024E19rocblas_complex_numIdEPKS1_PKS3_PKPS1_EvimT2_lT3_llT4_llli.num_named_barrier, 0
	.set _ZL23rocblas_syr_kernel_inc1ILb0ELi1024E19rocblas_complex_numIdEPKS1_PKS3_PKPS1_EvimT2_lT3_llT4_llli.private_seg_size, 0
	.set _ZL23rocblas_syr_kernel_inc1ILb0ELi1024E19rocblas_complex_numIdEPKS1_PKS3_PKPS1_EvimT2_lT3_llT4_llli.uses_vcc, 1
	.set _ZL23rocblas_syr_kernel_inc1ILb0ELi1024E19rocblas_complex_numIdEPKS1_PKS3_PKPS1_EvimT2_lT3_llT4_llli.uses_flat_scratch, 0
	.set _ZL23rocblas_syr_kernel_inc1ILb0ELi1024E19rocblas_complex_numIdEPKS1_PKS3_PKPS1_EvimT2_lT3_llT4_llli.has_dyn_sized_stack, 0
	.set _ZL23rocblas_syr_kernel_inc1ILb0ELi1024E19rocblas_complex_numIdEPKS1_PKS3_PKPS1_EvimT2_lT3_llT4_llli.has_recursion, 0
	.set _ZL23rocblas_syr_kernel_inc1ILb0ELi1024E19rocblas_complex_numIdEPKS1_PKS3_PKPS1_EvimT2_lT3_llT4_llli.has_indirect_call, 0
	.section	.AMDGPU.csdata,"",@progbits
; Kernel info:
; codeLenInByte = 812
; TotalNumSgprs: 32
; NumVgprs: 22
; ScratchSize: 0
; MemoryBound: 0
; FloatMode: 240
; IeeeMode: 1
; LDSByteSize: 0 bytes/workgroup (compile time only)
; SGPRBlocks: 0
; VGPRBlocks: 1
; NumSGPRsForWavesPerEU: 32
; NumVGPRsForWavesPerEU: 22
; NamedBarCnt: 0
; Occupancy: 16
; WaveLimiterHint : 1
; COMPUTE_PGM_RSRC2:SCRATCH_EN: 0
; COMPUTE_PGM_RSRC2:USER_SGPR: 2
; COMPUTE_PGM_RSRC2:TRAP_HANDLER: 0
; COMPUTE_PGM_RSRC2:TGID_X_EN: 1
; COMPUTE_PGM_RSRC2:TGID_Y_EN: 0
; COMPUTE_PGM_RSRC2:TGID_Z_EN: 1
; COMPUTE_PGM_RSRC2:TIDIG_COMP_CNT: 0
	.section	.text._ZL18rocblas_syr_kernelILb0ELi1024E19rocblas_complex_numIdEPKS1_PKS3_PKPS1_EvimT2_lT3_lllT4_llli,"axG",@progbits,_ZL18rocblas_syr_kernelILb0ELi1024E19rocblas_complex_numIdEPKS1_PKS3_PKPS1_EvimT2_lT3_lllT4_llli,comdat
	.globl	_ZL18rocblas_syr_kernelILb0ELi1024E19rocblas_complex_numIdEPKS1_PKS3_PKPS1_EvimT2_lT3_lllT4_llli ; -- Begin function _ZL18rocblas_syr_kernelILb0ELi1024E19rocblas_complex_numIdEPKS1_PKS3_PKPS1_EvimT2_lT3_lllT4_llli
	.p2align	8
	.type	_ZL18rocblas_syr_kernelILb0ELi1024E19rocblas_complex_numIdEPKS1_PKS3_PKPS1_EvimT2_lT3_lllT4_llli,@function
_ZL18rocblas_syr_kernelILb0ELi1024E19rocblas_complex_numIdEPKS1_PKS3_PKPS1_EvimT2_lT3_lllT4_llli: ; @_ZL18rocblas_syr_kernelILb0ELi1024E19rocblas_complex_numIdEPKS1_PKS3_PKPS1_EvimT2_lT3_lllT4_llli
; %bb.0:
	s_load_b32 s24, s[0:1], 0x60
	s_bfe_u32 s2, ttmp6, 0x40014
	s_lshr_b32 s3, ttmp7, 16
	s_add_co_i32 s2, s2, 1
	s_bfe_u32 s4, ttmp6, 0x40008
	s_mul_i32 s2, s3, s2
	s_getreg_b32 s25, hwreg(HW_REG_IB_STS2, 6, 4)
	s_add_co_i32 s4, s4, s2
	s_cmp_eq_u32 s25, 0
	s_cselect_b32 s2, s3, s4
	s_mov_b32 s3, 0
	s_wait_kmcnt 0x0
	s_cmp_ge_u32 s2, s24
	s_cbranch_scc1 .LBB59_7
; %bb.1:
	s_clause 0x4
	s_load_b32 s26, s[0:1], 0x0
	s_load_b128 s[12:15], s[0:1], 0x40
	s_load_b128 s[16:19], s[0:1], 0x28
	s_load_b256 s[4:11], s[0:1], 0x8
	s_load_b64 s[20:21], s[0:1], 0x50
	s_bfe_u32 s22, ttmp6, 0x4000c
	s_and_b32 s27, ttmp6, 15
	s_add_co_i32 s22, s22, 1
	v_mov_b32_e32 v1, 0
	s_mul_i32 s28, ttmp9, s22
	s_add_nc_u64 s[22:23], s[0:1], 0x68
	s_add_co_i32 s27, s27, s28
	s_cmp_eq_u32 s25, 0
	s_wait_xcnt 0x0
	s_cselect_b32 s1, ttmp9, s27
	s_wait_kmcnt 0x0
	s_add_co_i32 s25, s26, -1
	s_lshl_b64 s[14:15], s[14:15], 4
	s_lshl_b64 s[16:17], s[16:17], 4
	s_branch .LBB59_4
.LBB59_2:                               ;   in Loop: Header=BB59_4 Depth=1
	s_wait_xcnt 0x0
	s_or_b32 exec_lo, exec_lo, s0
.LBB59_3:                               ;   in Loop: Header=BB59_4 Depth=1
	s_add_co_i32 s2, s2, 0x10000
	s_delay_alu instid0(SALU_CYCLE_1)
	s_cmp_lt_u32 s2, s24
	s_cbranch_scc0 .LBB59_7
.LBB59_4:                               ; =>This Inner Loop Header: Depth=1
	s_wait_xcnt 0x0
	s_mul_u64 s[26:27], s[8:9], s[2:3]
	s_delay_alu instid0(SALU_CYCLE_1) | instskip(NEXT) | instid1(SALU_CYCLE_1)
	s_lshl_b64 s[26:27], s[26:27], 4
	s_add_nc_u64 s[26:27], s[6:7], s[26:27]
	global_load_b128 v[2:5], v1, s[26:27]
	s_wait_loadcnt 0x0
	v_cmp_neq_f64_e32 vcc_lo, 0, v[2:3]
	v_cmp_neq_f64_e64 s0, 0, v[4:5]
	s_or_b32 s0, vcc_lo, s0
	s_delay_alu instid0(SALU_CYCLE_1)
	s_and_not1_b32 vcc_lo, exec_lo, s0
	s_cbranch_vccnz .LBB59_3
; %bb.5:                                ;   in Loop: Header=BB59_4 Depth=1
	s_load_b32 s0, s[22:23], 0xc
	s_wait_kmcnt 0x0
	s_and_b32 s0, s0, 0xffff
	s_delay_alu instid0(SALU_CYCLE_1) | instskip(SKIP_1) | instid1(VALU_DEP_1)
	v_mad_nc_u64_u32 v[6:7], s0, s1, v[0:1]
	s_mov_b32 s0, exec_lo
	v_cmpx_gt_u64_e64 s[4:5], v[6:7]
	s_cbranch_execz .LBB59_2
; %bb.6:                                ;   in Loop: Header=BB59_4 Depth=1
	v_not_b32_e32 v7, v7
	v_not_b32_e32 v6, v6
	s_lshl_b64 s[26:27], s[2:3], 3
	s_delay_alu instid0(SALU_CYCLE_1) | instskip(SKIP_1) | instid1(VALU_DEP_1)
	s_add_nc_u64 s[28:29], s[10:11], s[26:27]
	s_add_nc_u64 s[26:27], s[12:13], s[26:27]
	v_add_nc_u64_e32 v[6:7], s[4:5], v[6:7]
	s_load_b64 s[28:29], s[28:29], 0x0
	s_delay_alu instid0(VALU_DEP_1) | instskip(SKIP_2) | instid1(VALU_DEP_2)
	v_lshlrev_b64_e32 v[8:9], 3, v[6:7]
	s_load_b64 s[26:27], s[26:27], 0x0
	v_sub_nc_u32_e32 v6, s25, v6
	v_cvt_f64_u32_e32 v[10:11], v9
	s_delay_alu instid0(VALU_DEP_3) | instskip(NEXT) | instid1(VALU_DEP_1)
	v_or_b32_e32 v7, 1, v8
	v_cvt_f64_u32_e32 v[8:9], v7
	s_wait_kmcnt 0x0
	s_wait_xcnt 0x0
	s_add_nc_u64 s[28:29], s[28:29], s[16:17]
	s_add_nc_u64 s[26:27], s[26:27], s[14:15]
	s_delay_alu instid0(VALU_DEP_3) | instskip(NEXT) | instid1(VALU_DEP_1)
	v_ldexp_f64 v[10:11], v[10:11], 32
	v_add_f64_e32 v[8:9], v[10:11], v[8:9]
	s_delay_alu instid0(VALU_DEP_1) | instskip(SKIP_1) | instid1(VALU_DEP_1)
	v_cmp_gt_f64_e32 vcc_lo, 0x10000000, v[8:9]
	v_cndmask_b32_e64 v7, 0, 0x100, vcc_lo
	v_ldexp_f64 v[8:9], v[8:9], v7
	v_cndmask_b32_e64 v7, 0, 0xffffff80, vcc_lo
	s_delay_alu instid0(VALU_DEP_2) | instskip(SKIP_1) | instid1(TRANS32_DEP_1)
	v_rsq_f64_e32 v[10:11], v[8:9]
	v_cmp_class_f64_e64 vcc_lo, v[8:9], 0x260
	v_mul_f64_e32 v[12:13], v[8:9], v[10:11]
	v_mul_f64_e32 v[10:11], 0.5, v[10:11]
	s_delay_alu instid0(VALU_DEP_1) | instskip(NEXT) | instid1(VALU_DEP_1)
	v_fma_f64 v[14:15], -v[10:11], v[12:13], 0.5
	v_fmac_f64_e32 v[12:13], v[12:13], v[14:15]
	v_fmac_f64_e32 v[10:11], v[10:11], v[14:15]
	s_delay_alu instid0(VALU_DEP_2) | instskip(NEXT) | instid1(VALU_DEP_1)
	v_fma_f64 v[14:15], -v[12:13], v[12:13], v[8:9]
	v_fmac_f64_e32 v[12:13], v[14:15], v[10:11]
	s_delay_alu instid0(VALU_DEP_1) | instskip(NEXT) | instid1(VALU_DEP_1)
	v_fma_f64 v[14:15], -v[12:13], v[12:13], v[8:9]
	v_fmac_f64_e32 v[12:13], v[14:15], v[10:11]
	s_delay_alu instid0(VALU_DEP_1) | instskip(NEXT) | instid1(VALU_DEP_1)
	v_ldexp_f64 v[10:11], v[12:13], v7
	v_dual_cndmask_b32 v9, v11, v9 :: v_dual_cndmask_b32 v8, v10, v8
	s_delay_alu instid0(VALU_DEP_1) | instskip(NEXT) | instid1(VALU_DEP_1)
	v_add_f64_e32 v[8:9], -1.0, v[8:9]
	v_mul_f64_e32 v[8:9], 0.5, v[8:9]
	s_delay_alu instid0(VALU_DEP_1) | instskip(NEXT) | instid1(VALU_DEP_1)
	v_cvt_i32_f64_e32 v10, v[8:9]
	v_mad_u32 v7, v10, v10, v10
	s_delay_alu instid0(VALU_DEP_1) | instskip(NEXT) | instid1(VALU_DEP_1)
	v_lshrrev_b32_e32 v8, 31, v7
	v_add_nc_u32_e32 v7, v7, v8
	s_delay_alu instid0(VALU_DEP_1) | instskip(NEXT) | instid1(VALU_DEP_1)
	v_ashrrev_i32_e32 v7, 1, v7
	v_add_nc_u32_e32 v14, v6, v7
	s_delay_alu instid0(VALU_DEP_1) | instskip(NEXT) | instid1(VALU_DEP_1)
	v_ashrrev_i32_e32 v15, 31, v14
	v_mul_u64_e32 v[6:7], s[18:19], v[14:15]
	s_delay_alu instid0(VALU_DEP_1) | instskip(SKIP_2) | instid1(VALU_DEP_1)
	v_lshl_add_u64 v[6:7], v[6:7], 4, s[28:29]
	flat_load_b128 v[6:9], v[6:7]
	v_sub_nc_u32_e32 v16, s25, v10
	v_ashrrev_i32_e32 v17, 31, v16
	s_delay_alu instid0(VALU_DEP_1) | instskip(NEXT) | instid1(VALU_DEP_1)
	v_mul_u64_e32 v[10:11], s[18:19], v[16:17]
	v_lshl_add_u64 v[10:11], v[10:11], 4, s[28:29]
	flat_load_b128 v[10:13], v[10:11]
	s_wait_loadcnt_dscnt 0x101
	v_mul_f64_e32 v[20:21], v[2:3], v[8:9]
	v_mul_f64_e32 v[8:9], v[4:5], v[8:9]
	s_delay_alu instid0(VALU_DEP_2) | instskip(NEXT) | instid1(VALU_DEP_2)
	v_fmac_f64_e32 v[20:21], v[4:5], v[6:7]
	v_fma_f64 v[2:3], v[2:3], v[6:7], -v[8:9]
	v_mul_u64_e32 v[16:17], s[20:21], v[16:17]
	s_wait_loadcnt_dscnt 0x0
	s_delay_alu instid0(VALU_DEP_3) | instskip(SKIP_2) | instid1(VALU_DEP_3)
	v_mul_f64_e32 v[4:5], v[12:13], v[20:21]
	s_wait_xcnt 0x1
	v_mul_f64_e32 v[6:7], v[10:11], v[20:21]
	v_lshl_add_u64 v[16:17], v[16:17], 4, s[26:27]
	s_delay_alu instid0(VALU_DEP_1) | instskip(SKIP_4) | instid1(VALU_DEP_2)
	v_lshl_add_u64 v[18:19], v[14:15], 4, v[16:17]
	flat_load_b128 v[14:17], v[18:19]
	v_fma_f64 v[4:5], v[10:11], v[2:3], -v[4:5]
	v_fmac_f64_e32 v[6:7], v[12:13], v[2:3]
	s_wait_loadcnt_dscnt 0x0
	v_add_f64_e32 v[2:3], v[14:15], v[4:5]
	s_delay_alu instid0(VALU_DEP_2)
	v_add_f64_e32 v[4:5], v[6:7], v[16:17]
	flat_store_b128 v[18:19], v[2:5]
	s_branch .LBB59_2
.LBB59_7:
	s_endpgm
	.section	.rodata,"a",@progbits
	.p2align	6, 0x0
	.amdhsa_kernel _ZL18rocblas_syr_kernelILb0ELi1024E19rocblas_complex_numIdEPKS1_PKS3_PKPS1_EvimT2_lT3_lllT4_llli
		.amdhsa_group_segment_fixed_size 0
		.amdhsa_private_segment_fixed_size 0
		.amdhsa_kernarg_size 360
		.amdhsa_user_sgpr_count 2
		.amdhsa_user_sgpr_dispatch_ptr 0
		.amdhsa_user_sgpr_queue_ptr 0
		.amdhsa_user_sgpr_kernarg_segment_ptr 1
		.amdhsa_user_sgpr_dispatch_id 0
		.amdhsa_user_sgpr_kernarg_preload_length 0
		.amdhsa_user_sgpr_kernarg_preload_offset 0
		.amdhsa_user_sgpr_private_segment_size 0
		.amdhsa_wavefront_size32 1
		.amdhsa_uses_dynamic_stack 0
		.amdhsa_enable_private_segment 0
		.amdhsa_system_sgpr_workgroup_id_x 1
		.amdhsa_system_sgpr_workgroup_id_y 0
		.amdhsa_system_sgpr_workgroup_id_z 1
		.amdhsa_system_sgpr_workgroup_info 0
		.amdhsa_system_vgpr_workitem_id 0
		.amdhsa_next_free_vgpr 22
		.amdhsa_next_free_sgpr 30
		.amdhsa_named_barrier_count 0
		.amdhsa_reserve_vcc 1
		.amdhsa_float_round_mode_32 0
		.amdhsa_float_round_mode_16_64 0
		.amdhsa_float_denorm_mode_32 3
		.amdhsa_float_denorm_mode_16_64 3
		.amdhsa_fp16_overflow 0
		.amdhsa_memory_ordered 1
		.amdhsa_forward_progress 1
		.amdhsa_inst_pref_size 7
		.amdhsa_round_robin_scheduling 0
		.amdhsa_exception_fp_ieee_invalid_op 0
		.amdhsa_exception_fp_denorm_src 0
		.amdhsa_exception_fp_ieee_div_zero 0
		.amdhsa_exception_fp_ieee_overflow 0
		.amdhsa_exception_fp_ieee_underflow 0
		.amdhsa_exception_fp_ieee_inexact 0
		.amdhsa_exception_int_div_zero 0
	.end_amdhsa_kernel
	.section	.text._ZL18rocblas_syr_kernelILb0ELi1024E19rocblas_complex_numIdEPKS1_PKS3_PKPS1_EvimT2_lT3_lllT4_llli,"axG",@progbits,_ZL18rocblas_syr_kernelILb0ELi1024E19rocblas_complex_numIdEPKS1_PKS3_PKPS1_EvimT2_lT3_lllT4_llli,comdat
.Lfunc_end59:
	.size	_ZL18rocblas_syr_kernelILb0ELi1024E19rocblas_complex_numIdEPKS1_PKS3_PKPS1_EvimT2_lT3_lllT4_llli, .Lfunc_end59-_ZL18rocblas_syr_kernelILb0ELi1024E19rocblas_complex_numIdEPKS1_PKS3_PKPS1_EvimT2_lT3_lllT4_llli
                                        ; -- End function
	.set _ZL18rocblas_syr_kernelILb0ELi1024E19rocblas_complex_numIdEPKS1_PKS3_PKPS1_EvimT2_lT3_lllT4_llli.num_vgpr, 22
	.set _ZL18rocblas_syr_kernelILb0ELi1024E19rocblas_complex_numIdEPKS1_PKS3_PKPS1_EvimT2_lT3_lllT4_llli.num_agpr, 0
	.set _ZL18rocblas_syr_kernelILb0ELi1024E19rocblas_complex_numIdEPKS1_PKS3_PKPS1_EvimT2_lT3_lllT4_llli.numbered_sgpr, 30
	.set _ZL18rocblas_syr_kernelILb0ELi1024E19rocblas_complex_numIdEPKS1_PKS3_PKPS1_EvimT2_lT3_lllT4_llli.num_named_barrier, 0
	.set _ZL18rocblas_syr_kernelILb0ELi1024E19rocblas_complex_numIdEPKS1_PKS3_PKPS1_EvimT2_lT3_lllT4_llli.private_seg_size, 0
	.set _ZL18rocblas_syr_kernelILb0ELi1024E19rocblas_complex_numIdEPKS1_PKS3_PKPS1_EvimT2_lT3_lllT4_llli.uses_vcc, 1
	.set _ZL18rocblas_syr_kernelILb0ELi1024E19rocblas_complex_numIdEPKS1_PKS3_PKPS1_EvimT2_lT3_lllT4_llli.uses_flat_scratch, 0
	.set _ZL18rocblas_syr_kernelILb0ELi1024E19rocblas_complex_numIdEPKS1_PKS3_PKPS1_EvimT2_lT3_lllT4_llli.has_dyn_sized_stack, 0
	.set _ZL18rocblas_syr_kernelILb0ELi1024E19rocblas_complex_numIdEPKS1_PKS3_PKPS1_EvimT2_lT3_lllT4_llli.has_recursion, 0
	.set _ZL18rocblas_syr_kernelILb0ELi1024E19rocblas_complex_numIdEPKS1_PKS3_PKPS1_EvimT2_lT3_lllT4_llli.has_indirect_call, 0
	.section	.AMDGPU.csdata,"",@progbits
; Kernel info:
; codeLenInByte = 824
; TotalNumSgprs: 32
; NumVgprs: 22
; ScratchSize: 0
; MemoryBound: 0
; FloatMode: 240
; IeeeMode: 1
; LDSByteSize: 0 bytes/workgroup (compile time only)
; SGPRBlocks: 0
; VGPRBlocks: 1
; NumSGPRsForWavesPerEU: 32
; NumVGPRsForWavesPerEU: 22
; NamedBarCnt: 0
; Occupancy: 16
; WaveLimiterHint : 1
; COMPUTE_PGM_RSRC2:SCRATCH_EN: 0
; COMPUTE_PGM_RSRC2:USER_SGPR: 2
; COMPUTE_PGM_RSRC2:TRAP_HANDLER: 0
; COMPUTE_PGM_RSRC2:TGID_X_EN: 1
; COMPUTE_PGM_RSRC2:TGID_Y_EN: 0
; COMPUTE_PGM_RSRC2:TGID_Z_EN: 1
; COMPUTE_PGM_RSRC2:TIDIG_COMP_CNT: 0
	.section	.text._ZL23rocblas_syr_kernel_inc1ILb1ELi1024E19rocblas_complex_numIdES1_PKPKS1_PKPS1_EvimT2_lT3_llT4_llli,"axG",@progbits,_ZL23rocblas_syr_kernel_inc1ILb1ELi1024E19rocblas_complex_numIdES1_PKPKS1_PKPS1_EvimT2_lT3_llT4_llli,comdat
	.globl	_ZL23rocblas_syr_kernel_inc1ILb1ELi1024E19rocblas_complex_numIdES1_PKPKS1_PKPS1_EvimT2_lT3_llT4_llli ; -- Begin function _ZL23rocblas_syr_kernel_inc1ILb1ELi1024E19rocblas_complex_numIdES1_PKPKS1_PKPS1_EvimT2_lT3_llT4_llli
	.p2align	8
	.type	_ZL23rocblas_syr_kernel_inc1ILb1ELi1024E19rocblas_complex_numIdES1_PKPKS1_PKPS1_EvimT2_lT3_llT4_llli,@function
_ZL23rocblas_syr_kernel_inc1ILb1ELi1024E19rocblas_complex_numIdES1_PKPKS1_PKPS1_EvimT2_lT3_llT4_llli: ; @_ZL23rocblas_syr_kernel_inc1ILb1ELi1024E19rocblas_complex_numIdES1_PKPKS1_PKPS1_EvimT2_lT3_llT4_llli
; %bb.0:
	s_load_b32 s18, s[0:1], 0x60
	s_bfe_u32 s2, ttmp6, 0x40014
	s_lshr_b32 s3, ttmp7, 16
	s_add_co_i32 s2, s2, 1
	s_bfe_u32 s4, ttmp6, 0x40008
	s_mul_i32 s2, s3, s2
	s_getreg_b32 s21, hwreg(HW_REG_IB_STS2, 6, 4)
	s_add_co_i32 s4, s4, s2
	s_cmp_eq_u32 s21, 0
	s_cselect_b32 s19, s3, s4
	s_wait_kmcnt 0x0
	s_cmp_ge_u32 s19, s18
	s_cbranch_scc1 .LBB60_7
; %bb.1:
	s_clause 0x4
	s_load_b128 s[4:7], s[0:1], 0x8
	s_load_b64 s[2:3], s[0:1], 0x18
	s_load_b128 s[8:11], s[0:1], 0x40
	s_load_b128 s[12:15], s[0:1], 0x28
	s_load_b64 s[16:17], s[0:1], 0x50
	s_bfe_u32 s23, ttmp6, 0x4000c
	s_and_b32 s24, ttmp6, 15
	s_add_co_i32 s23, s23, 1
	v_mov_b32_e32 v1, 0
	s_mul_i32 s23, ttmp9, s23
	s_wait_xcnt 0x0
	s_add_nc_u64 s[0:1], s[0:1], 0x68
	s_add_co_i32 s24, s24, s23
	s_wait_kmcnt 0x0
	v_cmp_neq_f64_e64 s20, s[6:7], 0
	v_cmp_neq_f64_e64 s22, s[2:3], 0
	s_or_b32 s20, s20, s22
	s_cmp_eq_u32 s21, 0
	s_cselect_b32 s21, ttmp9, s24
	s_lshl_b64 s[10:11], s[10:11], 4
	s_lshl_b64 s[14:15], s[14:15], 4
	s_branch .LBB60_4
.LBB60_2:                               ;   in Loop: Header=BB60_4 Depth=1
	s_wait_xcnt 0x0
	s_or_b32 exec_lo, exec_lo, s22
.LBB60_3:                               ;   in Loop: Header=BB60_4 Depth=1
	s_add_co_i32 s19, s19, 0x10000
	s_delay_alu instid0(SALU_CYCLE_1)
	s_cmp_lt_u32 s19, s18
	s_cbranch_scc0 .LBB60_7
.LBB60_4:                               ; =>This Inner Loop Header: Depth=1
	s_and_not1_b32 vcc_lo, exec_lo, s20
	s_cbranch_vccnz .LBB60_3
; %bb.5:                                ;   in Loop: Header=BB60_4 Depth=1
	s_load_b32 s22, s[0:1], 0xc
	s_wait_kmcnt 0x0
	s_and_b32 s22, s22, 0xffff
	s_delay_alu instid0(SALU_CYCLE_1) | instskip(SKIP_1) | instid1(VALU_DEP_1)
	v_mad_nc_u64_u32 v[2:3], s22, s21, v[0:1]
	s_mov_b32 s22, exec_lo
	v_cmpx_gt_u64_e64 s[4:5], v[2:3]
	s_cbranch_execz .LBB60_2
; %bb.6:                                ;   in Loop: Header=BB60_4 Depth=1
	v_lshlrev_b64_e32 v[4:5], 3, v[2:3]
	s_load_b64 s[24:25], s[12:13], s19 offset:0x0 scale_offset
	s_delay_alu instid0(VALU_DEP_1) | instskip(NEXT) | instid1(VALU_DEP_2)
	v_cvt_f64_u32_e32 v[6:7], v5
	v_or_b32_e32 v3, 1, v4
	s_delay_alu instid0(VALU_DEP_1) | instskip(SKIP_2) | instid1(VALU_DEP_3)
	v_cvt_f64_u32_e32 v[4:5], v3
	s_wait_kmcnt 0x0
	s_add_nc_u64 s[24:25], s[24:25], s[14:15]
	v_ldexp_f64 v[6:7], v[6:7], 32
	s_delay_alu instid0(VALU_DEP_1) | instskip(NEXT) | instid1(VALU_DEP_1)
	v_add_f64_e32 v[4:5], v[6:7], v[4:5]
	v_cmp_gt_f64_e32 vcc_lo, 0x10000000, v[4:5]
	v_cndmask_b32_e64 v3, 0, 0x100, vcc_lo
	s_delay_alu instid0(VALU_DEP_1) | instskip(SKIP_1) | instid1(VALU_DEP_2)
	v_ldexp_f64 v[4:5], v[4:5], v3
	v_cndmask_b32_e64 v3, 0, 0xffffff80, vcc_lo
	v_rsq_f64_e32 v[6:7], v[4:5]
	v_cmp_class_f64_e64 vcc_lo, v[4:5], 0x260
	s_delay_alu instid0(TRANS32_DEP_1) | instskip(SKIP_1) | instid1(VALU_DEP_1)
	v_mul_f64_e32 v[8:9], v[4:5], v[6:7]
	v_mul_f64_e32 v[6:7], 0.5, v[6:7]
	v_fma_f64 v[10:11], -v[6:7], v[8:9], 0.5
	s_delay_alu instid0(VALU_DEP_1) | instskip(SKIP_1) | instid1(VALU_DEP_2)
	v_fmac_f64_e32 v[8:9], v[8:9], v[10:11]
	v_fmac_f64_e32 v[6:7], v[6:7], v[10:11]
	v_fma_f64 v[10:11], -v[8:9], v[8:9], v[4:5]
	s_delay_alu instid0(VALU_DEP_1) | instskip(NEXT) | instid1(VALU_DEP_1)
	v_fmac_f64_e32 v[8:9], v[10:11], v[6:7]
	v_fma_f64 v[10:11], -v[8:9], v[8:9], v[4:5]
	s_delay_alu instid0(VALU_DEP_1) | instskip(NEXT) | instid1(VALU_DEP_1)
	v_fmac_f64_e32 v[8:9], v[10:11], v[6:7]
	v_ldexp_f64 v[6:7], v[8:9], v3
	s_delay_alu instid0(VALU_DEP_1) | instskip(NEXT) | instid1(VALU_DEP_1)
	v_dual_cndmask_b32 v5, v7, v5 :: v_dual_cndmask_b32 v4, v6, v4
	v_add_f64_e32 v[4:5], -1.0, v[4:5]
	s_delay_alu instid0(VALU_DEP_1) | instskip(NEXT) | instid1(VALU_DEP_1)
	v_mul_f64_e32 v[4:5], 0.5, v[4:5]
	v_cvt_i32_f64_e32 v10, v[4:5]
	s_delay_alu instid0(VALU_DEP_1) | instskip(NEXT) | instid1(VALU_DEP_1)
	v_mad_u32 v3, v10, v10, v10
	v_dual_ashrrev_i32 v11, 31, v10 :: v_dual_lshrrev_b32 v4, 31, v3
	s_delay_alu instid0(VALU_DEP_1) | instskip(NEXT) | instid1(VALU_DEP_1)
	v_add_nc_u32_e32 v3, v3, v4
	v_ashrrev_i32_e32 v3, 1, v3
	s_delay_alu instid0(VALU_DEP_1)
	v_sub_nc_u32_e32 v12, v2, v3
	s_clause 0x1
	flat_load_b128 v[2:5], v12, s[24:25] scale_offset
	flat_load_b128 v[6:9], v10, s[24:25] scale_offset
	s_wait_xcnt 0x0
	v_mul_u64_e32 v[10:11], s[16:17], v[10:11]
	s_load_b64 s[24:25], s[8:9], s19 offset:0x0 scale_offset
	s_wait_kmcnt 0x0
	s_add_nc_u64 s[24:25], s[24:25], s[10:11]
	s_delay_alu instid0(VALU_DEP_1) | instid1(SALU_CYCLE_1)
	v_lshl_add_u64 v[10:11], v[10:11], 4, s[24:25]
	s_wait_loadcnt_dscnt 0x101
	v_mul_f64_e32 v[16:17], s[6:7], v[4:5]
	v_mul_f64_e32 v[4:5], s[2:3], v[4:5]
	v_ashrrev_i32_e32 v13, 31, v12
	s_delay_alu instid0(VALU_DEP_3) | instskip(NEXT) | instid1(VALU_DEP_3)
	v_fmac_f64_e32 v[16:17], s[2:3], v[2:3]
	v_fma_f64 v[2:3], s[6:7], v[2:3], -v[4:5]
	s_delay_alu instid0(VALU_DEP_3) | instskip(SKIP_4) | instid1(VALU_DEP_2)
	v_lshl_add_u64 v[14:15], v[12:13], 4, v[10:11]
	flat_load_b128 v[10:13], v[14:15]
	s_wait_loadcnt_dscnt 0x101
	v_mul_f64_e32 v[4:5], v[8:9], v[16:17]
	v_mul_f64_e32 v[16:17], v[6:7], v[16:17]
	v_fma_f64 v[4:5], v[6:7], v[2:3], -v[4:5]
	s_delay_alu instid0(VALU_DEP_2) | instskip(SKIP_1) | instid1(VALU_DEP_2)
	v_fmac_f64_e32 v[16:17], v[8:9], v[2:3]
	s_wait_loadcnt_dscnt 0x0
	v_add_f64_e32 v[2:3], v[10:11], v[4:5]
	s_delay_alu instid0(VALU_DEP_2)
	v_add_f64_e32 v[4:5], v[16:17], v[12:13]
	flat_store_b128 v[14:15], v[2:5]
	s_branch .LBB60_2
.LBB60_7:
	s_endpgm
	.section	.rodata,"a",@progbits
	.p2align	6, 0x0
	.amdhsa_kernel _ZL23rocblas_syr_kernel_inc1ILb1ELi1024E19rocblas_complex_numIdES1_PKPKS1_PKPS1_EvimT2_lT3_llT4_llli
		.amdhsa_group_segment_fixed_size 0
		.amdhsa_private_segment_fixed_size 0
		.amdhsa_kernarg_size 360
		.amdhsa_user_sgpr_count 2
		.amdhsa_user_sgpr_dispatch_ptr 0
		.amdhsa_user_sgpr_queue_ptr 0
		.amdhsa_user_sgpr_kernarg_segment_ptr 1
		.amdhsa_user_sgpr_dispatch_id 0
		.amdhsa_user_sgpr_kernarg_preload_length 0
		.amdhsa_user_sgpr_kernarg_preload_offset 0
		.amdhsa_user_sgpr_private_segment_size 0
		.amdhsa_wavefront_size32 1
		.amdhsa_uses_dynamic_stack 0
		.amdhsa_enable_private_segment 0
		.amdhsa_system_sgpr_workgroup_id_x 1
		.amdhsa_system_sgpr_workgroup_id_y 0
		.amdhsa_system_sgpr_workgroup_id_z 1
		.amdhsa_system_sgpr_workgroup_info 0
		.amdhsa_system_vgpr_workitem_id 0
		.amdhsa_next_free_vgpr 18
		.amdhsa_next_free_sgpr 26
		.amdhsa_named_barrier_count 0
		.amdhsa_reserve_vcc 1
		.amdhsa_float_round_mode_32 0
		.amdhsa_float_round_mode_16_64 0
		.amdhsa_float_denorm_mode_32 3
		.amdhsa_float_denorm_mode_16_64 3
		.amdhsa_fp16_overflow 0
		.amdhsa_memory_ordered 1
		.amdhsa_forward_progress 1
		.amdhsa_inst_pref_size 6
		.amdhsa_round_robin_scheduling 0
		.amdhsa_exception_fp_ieee_invalid_op 0
		.amdhsa_exception_fp_denorm_src 0
		.amdhsa_exception_fp_ieee_div_zero 0
		.amdhsa_exception_fp_ieee_overflow 0
		.amdhsa_exception_fp_ieee_underflow 0
		.amdhsa_exception_fp_ieee_inexact 0
		.amdhsa_exception_int_div_zero 0
	.end_amdhsa_kernel
	.section	.text._ZL23rocblas_syr_kernel_inc1ILb1ELi1024E19rocblas_complex_numIdES1_PKPKS1_PKPS1_EvimT2_lT3_llT4_llli,"axG",@progbits,_ZL23rocblas_syr_kernel_inc1ILb1ELi1024E19rocblas_complex_numIdES1_PKPKS1_PKPS1_EvimT2_lT3_llT4_llli,comdat
.Lfunc_end60:
	.size	_ZL23rocblas_syr_kernel_inc1ILb1ELi1024E19rocblas_complex_numIdES1_PKPKS1_PKPS1_EvimT2_lT3_llT4_llli, .Lfunc_end60-_ZL23rocblas_syr_kernel_inc1ILb1ELi1024E19rocblas_complex_numIdES1_PKPKS1_PKPS1_EvimT2_lT3_llT4_llli
                                        ; -- End function
	.set _ZL23rocblas_syr_kernel_inc1ILb1ELi1024E19rocblas_complex_numIdES1_PKPKS1_PKPS1_EvimT2_lT3_llT4_llli.num_vgpr, 18
	.set _ZL23rocblas_syr_kernel_inc1ILb1ELi1024E19rocblas_complex_numIdES1_PKPKS1_PKPS1_EvimT2_lT3_llT4_llli.num_agpr, 0
	.set _ZL23rocblas_syr_kernel_inc1ILb1ELi1024E19rocblas_complex_numIdES1_PKPKS1_PKPS1_EvimT2_lT3_llT4_llli.numbered_sgpr, 26
	.set _ZL23rocblas_syr_kernel_inc1ILb1ELi1024E19rocblas_complex_numIdES1_PKPKS1_PKPS1_EvimT2_lT3_llT4_llli.num_named_barrier, 0
	.set _ZL23rocblas_syr_kernel_inc1ILb1ELi1024E19rocblas_complex_numIdES1_PKPKS1_PKPS1_EvimT2_lT3_llT4_llli.private_seg_size, 0
	.set _ZL23rocblas_syr_kernel_inc1ILb1ELi1024E19rocblas_complex_numIdES1_PKPKS1_PKPS1_EvimT2_lT3_llT4_llli.uses_vcc, 1
	.set _ZL23rocblas_syr_kernel_inc1ILb1ELi1024E19rocblas_complex_numIdES1_PKPKS1_PKPS1_EvimT2_lT3_llT4_llli.uses_flat_scratch, 1
	.set _ZL23rocblas_syr_kernel_inc1ILb1ELi1024E19rocblas_complex_numIdES1_PKPKS1_PKPS1_EvimT2_lT3_llT4_llli.has_dyn_sized_stack, 0
	.set _ZL23rocblas_syr_kernel_inc1ILb1ELi1024E19rocblas_complex_numIdES1_PKPKS1_PKPS1_EvimT2_lT3_llT4_llli.has_recursion, 0
	.set _ZL23rocblas_syr_kernel_inc1ILb1ELi1024E19rocblas_complex_numIdES1_PKPKS1_PKPS1_EvimT2_lT3_llT4_llli.has_indirect_call, 0
	.section	.AMDGPU.csdata,"",@progbits
; Kernel info:
; codeLenInByte = 720
; TotalNumSgprs: 28
; NumVgprs: 18
; ScratchSize: 0
; MemoryBound: 0
; FloatMode: 240
; IeeeMode: 1
; LDSByteSize: 0 bytes/workgroup (compile time only)
; SGPRBlocks: 0
; VGPRBlocks: 1
; NumSGPRsForWavesPerEU: 28
; NumVGPRsForWavesPerEU: 18
; NamedBarCnt: 0
; Occupancy: 16
; WaveLimiterHint : 1
; COMPUTE_PGM_RSRC2:SCRATCH_EN: 0
; COMPUTE_PGM_RSRC2:USER_SGPR: 2
; COMPUTE_PGM_RSRC2:TRAP_HANDLER: 0
; COMPUTE_PGM_RSRC2:TGID_X_EN: 1
; COMPUTE_PGM_RSRC2:TGID_Y_EN: 0
; COMPUTE_PGM_RSRC2:TGID_Z_EN: 1
; COMPUTE_PGM_RSRC2:TIDIG_COMP_CNT: 0
	.section	.text._ZL18rocblas_syr_kernelILb1ELi1024E19rocblas_complex_numIdES1_PKPKS1_PKPS1_EvimT2_lT3_lllT4_llli,"axG",@progbits,_ZL18rocblas_syr_kernelILb1ELi1024E19rocblas_complex_numIdES1_PKPKS1_PKPS1_EvimT2_lT3_lllT4_llli,comdat
	.globl	_ZL18rocblas_syr_kernelILb1ELi1024E19rocblas_complex_numIdES1_PKPKS1_PKPS1_EvimT2_lT3_lllT4_llli ; -- Begin function _ZL18rocblas_syr_kernelILb1ELi1024E19rocblas_complex_numIdES1_PKPKS1_PKPS1_EvimT2_lT3_lllT4_llli
	.p2align	8
	.type	_ZL18rocblas_syr_kernelILb1ELi1024E19rocblas_complex_numIdES1_PKPKS1_PKPS1_EvimT2_lT3_lllT4_llli,@function
_ZL18rocblas_syr_kernelILb1ELi1024E19rocblas_complex_numIdES1_PKPKS1_PKPS1_EvimT2_lT3_lllT4_llli: ; @_ZL18rocblas_syr_kernelILb1ELi1024E19rocblas_complex_numIdES1_PKPKS1_PKPS1_EvimT2_lT3_lllT4_llli
; %bb.0:
	s_load_b32 s20, s[0:1], 0x68
	s_bfe_u32 s2, ttmp6, 0x40014
	s_lshr_b32 s3, ttmp7, 16
	s_add_co_i32 s2, s2, 1
	s_bfe_u32 s4, ttmp6, 0x40008
	s_mul_i32 s2, s3, s2
	s_getreg_b32 s23, hwreg(HW_REG_IB_STS2, 6, 4)
	s_add_co_i32 s4, s4, s2
	s_cmp_eq_u32 s23, 0
	s_cselect_b32 s21, s3, s4
	s_wait_kmcnt 0x0
	s_cmp_ge_u32 s21, s20
	s_cbranch_scc1 .LBB61_7
; %bb.1:
	s_clause 0x5
	s_load_b128 s[4:7], s[0:1], 0x8
	s_load_b64 s[2:3], s[0:1], 0x18
	s_load_b128 s[8:11], s[0:1], 0x48
	s_load_b128 s[12:15], s[0:1], 0x28
	s_load_b64 s[16:17], s[0:1], 0x58
	s_load_b64 s[18:19], s[0:1], 0x38
	s_bfe_u32 s25, ttmp6, 0x4000c
	s_and_b32 s26, ttmp6, 15
	s_add_co_i32 s25, s25, 1
	v_mov_b32_e32 v1, 0
	s_mul_i32 s25, ttmp9, s25
	s_wait_xcnt 0x0
	s_add_nc_u64 s[0:1], s[0:1], 0x70
	s_add_co_i32 s26, s26, s25
	s_wait_kmcnt 0x0
	v_cmp_neq_f64_e64 s22, s[6:7], 0
	v_cmp_neq_f64_e64 s24, s[2:3], 0
	s_or_b32 s22, s22, s24
	s_cmp_eq_u32 s23, 0
	s_cselect_b32 s23, ttmp9, s26
	s_lshl_b64 s[10:11], s[10:11], 4
	s_lshl_b64 s[14:15], s[14:15], 4
	s_branch .LBB61_4
.LBB61_2:                               ;   in Loop: Header=BB61_4 Depth=1
	s_wait_xcnt 0x0
	s_or_b32 exec_lo, exec_lo, s24
.LBB61_3:                               ;   in Loop: Header=BB61_4 Depth=1
	s_add_co_i32 s21, s21, 0x10000
	s_delay_alu instid0(SALU_CYCLE_1)
	s_cmp_lt_u32 s21, s20
	s_cbranch_scc0 .LBB61_7
.LBB61_4:                               ; =>This Inner Loop Header: Depth=1
	s_and_not1_b32 vcc_lo, exec_lo, s22
	s_cbranch_vccnz .LBB61_3
; %bb.5:                                ;   in Loop: Header=BB61_4 Depth=1
	s_load_b32 s24, s[0:1], 0xc
	s_wait_kmcnt 0x0
	s_and_b32 s24, s24, 0xffff
	s_delay_alu instid0(SALU_CYCLE_1) | instskip(SKIP_1) | instid1(VALU_DEP_1)
	v_mad_nc_u64_u32 v[2:3], s24, s23, v[0:1]
	s_mov_b32 s24, exec_lo
	v_cmpx_gt_u64_e64 s[4:5], v[2:3]
	s_cbranch_execz .LBB61_2
; %bb.6:                                ;   in Loop: Header=BB61_4 Depth=1
	v_lshlrev_b64_e32 v[4:5], 3, v[2:3]
	s_load_b64 s[26:27], s[12:13], s21 offset:0x0 scale_offset
	s_delay_alu instid0(VALU_DEP_1) | instskip(NEXT) | instid1(VALU_DEP_2)
	v_cvt_f64_u32_e32 v[6:7], v5
	v_or_b32_e32 v3, 1, v4
	s_delay_alu instid0(VALU_DEP_1) | instskip(SKIP_2) | instid1(VALU_DEP_3)
	v_cvt_f64_u32_e32 v[4:5], v3
	s_wait_kmcnt 0x0
	s_add_nc_u64 s[26:27], s[26:27], s[14:15]
	v_ldexp_f64 v[6:7], v[6:7], 32
	s_delay_alu instid0(VALU_DEP_1) | instskip(NEXT) | instid1(VALU_DEP_1)
	v_add_f64_e32 v[4:5], v[6:7], v[4:5]
	v_cmp_gt_f64_e32 vcc_lo, 0x10000000, v[4:5]
	v_cndmask_b32_e64 v3, 0, 0x100, vcc_lo
	s_delay_alu instid0(VALU_DEP_1) | instskip(SKIP_1) | instid1(VALU_DEP_2)
	v_ldexp_f64 v[4:5], v[4:5], v3
	v_cndmask_b32_e64 v3, 0, 0xffffff80, vcc_lo
	v_rsq_f64_e32 v[6:7], v[4:5]
	v_cmp_class_f64_e64 vcc_lo, v[4:5], 0x260
	s_delay_alu instid0(TRANS32_DEP_1) | instskip(SKIP_1) | instid1(VALU_DEP_1)
	v_mul_f64_e32 v[8:9], v[4:5], v[6:7]
	v_mul_f64_e32 v[6:7], 0.5, v[6:7]
	v_fma_f64 v[10:11], -v[6:7], v[8:9], 0.5
	s_delay_alu instid0(VALU_DEP_1) | instskip(SKIP_1) | instid1(VALU_DEP_2)
	v_fmac_f64_e32 v[8:9], v[8:9], v[10:11]
	v_fmac_f64_e32 v[6:7], v[6:7], v[10:11]
	v_fma_f64 v[10:11], -v[8:9], v[8:9], v[4:5]
	s_delay_alu instid0(VALU_DEP_1) | instskip(NEXT) | instid1(VALU_DEP_1)
	v_fmac_f64_e32 v[8:9], v[10:11], v[6:7]
	v_fma_f64 v[10:11], -v[8:9], v[8:9], v[4:5]
	s_delay_alu instid0(VALU_DEP_1) | instskip(NEXT) | instid1(VALU_DEP_1)
	v_fmac_f64_e32 v[8:9], v[10:11], v[6:7]
	v_ldexp_f64 v[6:7], v[8:9], v3
	s_delay_alu instid0(VALU_DEP_1) | instskip(NEXT) | instid1(VALU_DEP_1)
	v_dual_cndmask_b32 v5, v7, v5 :: v_dual_cndmask_b32 v4, v6, v4
	v_add_f64_e32 v[4:5], -1.0, v[4:5]
	s_delay_alu instid0(VALU_DEP_1) | instskip(NEXT) | instid1(VALU_DEP_1)
	v_mul_f64_e32 v[4:5], 0.5, v[4:5]
	v_cvt_i32_f64_e32 v10, v[4:5]
	s_delay_alu instid0(VALU_DEP_1) | instskip(SKIP_1) | instid1(VALU_DEP_1)
	v_mad_u32 v3, v10, v10, v10
	v_ashrrev_i32_e32 v11, 31, v10
	v_mul_u64_e32 v[6:7], s[18:19], v[10:11]
	v_mul_u64_e32 v[10:11], s[16:17], v[10:11]
	s_delay_alu instid0(VALU_DEP_4) | instskip(NEXT) | instid1(VALU_DEP_1)
	v_lshrrev_b32_e32 v4, 31, v3
	v_add_nc_u32_e32 v3, v3, v4
	s_delay_alu instid0(VALU_DEP_1) | instskip(NEXT) | instid1(VALU_DEP_1)
	v_ashrrev_i32_e32 v3, 1, v3
	v_sub_nc_u32_e32 v12, v2, v3
	s_delay_alu instid0(VALU_DEP_1) | instskip(NEXT) | instid1(VALU_DEP_1)
	v_ashrrev_i32_e32 v13, 31, v12
	v_mul_u64_e32 v[2:3], s[18:19], v[12:13]
	v_lshl_add_u64 v[6:7], v[6:7], 4, s[26:27]
	flat_load_b128 v[6:9], v[6:7]
	v_lshl_add_u64 v[2:3], v[2:3], 4, s[26:27]
	s_load_b64 s[26:27], s[8:9], s21 offset:0x0 scale_offset
	flat_load_b128 v[2:5], v[2:3]
	s_wait_kmcnt 0x0
	s_add_nc_u64 s[26:27], s[26:27], s[10:11]
	s_delay_alu instid0(SALU_CYCLE_1) | instskip(SKIP_3) | instid1(VALU_DEP_2)
	v_lshl_add_u64 v[10:11], v[10:11], 4, s[26:27]
	s_wait_loadcnt_dscnt 0x0
	v_mul_f64_e32 v[16:17], s[6:7], v[4:5]
	v_mul_f64_e32 v[4:5], s[2:3], v[4:5]
	v_fmac_f64_e32 v[16:17], s[2:3], v[2:3]
	s_wait_xcnt 0x0
	s_delay_alu instid0(VALU_DEP_2) | instskip(SKIP_4) | instid1(VALU_DEP_2)
	v_fma_f64 v[2:3], s[6:7], v[2:3], -v[4:5]
	v_lshl_add_u64 v[14:15], v[12:13], 4, v[10:11]
	flat_load_b128 v[10:13], v[14:15]
	v_mul_f64_e32 v[4:5], v[8:9], v[16:17]
	v_mul_f64_e32 v[16:17], v[6:7], v[16:17]
	v_fma_f64 v[4:5], v[6:7], v[2:3], -v[4:5]
	s_delay_alu instid0(VALU_DEP_2) | instskip(SKIP_1) | instid1(VALU_DEP_2)
	v_fmac_f64_e32 v[16:17], v[8:9], v[2:3]
	s_wait_loadcnt_dscnt 0x0
	v_add_f64_e32 v[2:3], v[10:11], v[4:5]
	s_delay_alu instid0(VALU_DEP_2)
	v_add_f64_e32 v[4:5], v[16:17], v[12:13]
	flat_store_b128 v[14:15], v[2:5]
	s_branch .LBB61_2
.LBB61_7:
	s_endpgm
	.section	.rodata,"a",@progbits
	.p2align	6, 0x0
	.amdhsa_kernel _ZL18rocblas_syr_kernelILb1ELi1024E19rocblas_complex_numIdES1_PKPKS1_PKPS1_EvimT2_lT3_lllT4_llli
		.amdhsa_group_segment_fixed_size 0
		.amdhsa_private_segment_fixed_size 0
		.amdhsa_kernarg_size 368
		.amdhsa_user_sgpr_count 2
		.amdhsa_user_sgpr_dispatch_ptr 0
		.amdhsa_user_sgpr_queue_ptr 0
		.amdhsa_user_sgpr_kernarg_segment_ptr 1
		.amdhsa_user_sgpr_dispatch_id 0
		.amdhsa_user_sgpr_kernarg_preload_length 0
		.amdhsa_user_sgpr_kernarg_preload_offset 0
		.amdhsa_user_sgpr_private_segment_size 0
		.amdhsa_wavefront_size32 1
		.amdhsa_uses_dynamic_stack 0
		.amdhsa_enable_private_segment 0
		.amdhsa_system_sgpr_workgroup_id_x 1
		.amdhsa_system_sgpr_workgroup_id_y 0
		.amdhsa_system_sgpr_workgroup_id_z 1
		.amdhsa_system_sgpr_workgroup_info 0
		.amdhsa_system_vgpr_workitem_id 0
		.amdhsa_next_free_vgpr 18
		.amdhsa_next_free_sgpr 28
		.amdhsa_named_barrier_count 0
		.amdhsa_reserve_vcc 1
		.amdhsa_float_round_mode_32 0
		.amdhsa_float_round_mode_16_64 0
		.amdhsa_float_denorm_mode_32 3
		.amdhsa_float_denorm_mode_16_64 3
		.amdhsa_fp16_overflow 0
		.amdhsa_memory_ordered 1
		.amdhsa_forward_progress 1
		.amdhsa_inst_pref_size 6
		.amdhsa_round_robin_scheduling 0
		.amdhsa_exception_fp_ieee_invalid_op 0
		.amdhsa_exception_fp_denorm_src 0
		.amdhsa_exception_fp_ieee_div_zero 0
		.amdhsa_exception_fp_ieee_overflow 0
		.amdhsa_exception_fp_ieee_underflow 0
		.amdhsa_exception_fp_ieee_inexact 0
		.amdhsa_exception_int_div_zero 0
	.end_amdhsa_kernel
	.section	.text._ZL18rocblas_syr_kernelILb1ELi1024E19rocblas_complex_numIdES1_PKPKS1_PKPS1_EvimT2_lT3_lllT4_llli,"axG",@progbits,_ZL18rocblas_syr_kernelILb1ELi1024E19rocblas_complex_numIdES1_PKPKS1_PKPS1_EvimT2_lT3_lllT4_llli,comdat
.Lfunc_end61:
	.size	_ZL18rocblas_syr_kernelILb1ELi1024E19rocblas_complex_numIdES1_PKPKS1_PKPS1_EvimT2_lT3_lllT4_llli, .Lfunc_end61-_ZL18rocblas_syr_kernelILb1ELi1024E19rocblas_complex_numIdES1_PKPKS1_PKPS1_EvimT2_lT3_lllT4_llli
                                        ; -- End function
	.set _ZL18rocblas_syr_kernelILb1ELi1024E19rocblas_complex_numIdES1_PKPKS1_PKPS1_EvimT2_lT3_lllT4_llli.num_vgpr, 18
	.set _ZL18rocblas_syr_kernelILb1ELi1024E19rocblas_complex_numIdES1_PKPKS1_PKPS1_EvimT2_lT3_lllT4_llli.num_agpr, 0
	.set _ZL18rocblas_syr_kernelILb1ELi1024E19rocblas_complex_numIdES1_PKPKS1_PKPS1_EvimT2_lT3_lllT4_llli.numbered_sgpr, 28
	.set _ZL18rocblas_syr_kernelILb1ELi1024E19rocblas_complex_numIdES1_PKPKS1_PKPS1_EvimT2_lT3_lllT4_llli.num_named_barrier, 0
	.set _ZL18rocblas_syr_kernelILb1ELi1024E19rocblas_complex_numIdES1_PKPKS1_PKPS1_EvimT2_lT3_lllT4_llli.private_seg_size, 0
	.set _ZL18rocblas_syr_kernelILb1ELi1024E19rocblas_complex_numIdES1_PKPKS1_PKPS1_EvimT2_lT3_lllT4_llli.uses_vcc, 1
	.set _ZL18rocblas_syr_kernelILb1ELi1024E19rocblas_complex_numIdES1_PKPKS1_PKPS1_EvimT2_lT3_lllT4_llli.uses_flat_scratch, 0
	.set _ZL18rocblas_syr_kernelILb1ELi1024E19rocblas_complex_numIdES1_PKPKS1_PKPS1_EvimT2_lT3_lllT4_llli.has_dyn_sized_stack, 0
	.set _ZL18rocblas_syr_kernelILb1ELi1024E19rocblas_complex_numIdES1_PKPKS1_PKPS1_EvimT2_lT3_lllT4_llli.has_recursion, 0
	.set _ZL18rocblas_syr_kernelILb1ELi1024E19rocblas_complex_numIdES1_PKPKS1_PKPS1_EvimT2_lT3_lllT4_llli.has_indirect_call, 0
	.section	.AMDGPU.csdata,"",@progbits
; Kernel info:
; codeLenInByte = 740
; TotalNumSgprs: 30
; NumVgprs: 18
; ScratchSize: 0
; MemoryBound: 0
; FloatMode: 240
; IeeeMode: 1
; LDSByteSize: 0 bytes/workgroup (compile time only)
; SGPRBlocks: 0
; VGPRBlocks: 1
; NumSGPRsForWavesPerEU: 30
; NumVGPRsForWavesPerEU: 18
; NamedBarCnt: 0
; Occupancy: 16
; WaveLimiterHint : 1
; COMPUTE_PGM_RSRC2:SCRATCH_EN: 0
; COMPUTE_PGM_RSRC2:USER_SGPR: 2
; COMPUTE_PGM_RSRC2:TRAP_HANDLER: 0
; COMPUTE_PGM_RSRC2:TGID_X_EN: 1
; COMPUTE_PGM_RSRC2:TGID_Y_EN: 0
; COMPUTE_PGM_RSRC2:TGID_Z_EN: 1
; COMPUTE_PGM_RSRC2:TIDIG_COMP_CNT: 0
	.section	.text._ZL23rocblas_syr_kernel_inc1ILb0ELi1024E19rocblas_complex_numIdES1_PKPKS1_PKPS1_EvimT2_lT3_llT4_llli,"axG",@progbits,_ZL23rocblas_syr_kernel_inc1ILb0ELi1024E19rocblas_complex_numIdES1_PKPKS1_PKPS1_EvimT2_lT3_llT4_llli,comdat
	.globl	_ZL23rocblas_syr_kernel_inc1ILb0ELi1024E19rocblas_complex_numIdES1_PKPKS1_PKPS1_EvimT2_lT3_llT4_llli ; -- Begin function _ZL23rocblas_syr_kernel_inc1ILb0ELi1024E19rocblas_complex_numIdES1_PKPKS1_PKPS1_EvimT2_lT3_llT4_llli
	.p2align	8
	.type	_ZL23rocblas_syr_kernel_inc1ILb0ELi1024E19rocblas_complex_numIdES1_PKPKS1_PKPS1_EvimT2_lT3_llT4_llli,@function
_ZL23rocblas_syr_kernel_inc1ILb0ELi1024E19rocblas_complex_numIdES1_PKPKS1_PKPS1_EvimT2_lT3_llT4_llli: ; @_ZL23rocblas_syr_kernel_inc1ILb0ELi1024E19rocblas_complex_numIdES1_PKPKS1_PKPS1_EvimT2_lT3_llT4_llli
; %bb.0:
	s_load_b32 s20, s[0:1], 0x60
	s_bfe_u32 s2, ttmp6, 0x40014
	s_lshr_b32 s3, ttmp7, 16
	s_add_co_i32 s2, s2, 1
	s_bfe_u32 s4, ttmp6, 0x40008
	s_mul_i32 s2, s3, s2
	s_getreg_b32 s23, hwreg(HW_REG_IB_STS2, 6, 4)
	s_add_co_i32 s4, s4, s2
	s_cmp_eq_u32 s23, 0
	s_cselect_b32 s21, s3, s4
	s_wait_kmcnt 0x0
	s_cmp_ge_u32 s21, s20
	s_cbranch_scc1 .LBB62_7
; %bb.1:
	s_clause 0x5
	s_load_b128 s[4:7], s[0:1], 0x8
	s_load_b64 s[2:3], s[0:1], 0x18
	s_load_b128 s[8:11], s[0:1], 0x28
	s_load_b32 s16, s[0:1], 0x0
	s_load_b128 s[12:15], s[0:1], 0x40
	s_load_b64 s[18:19], s[0:1], 0x50
	s_bfe_u32 s17, ttmp6, 0x4000c
	s_and_b32 s25, ttmp6, 15
	s_add_co_i32 s17, s17, 1
	v_mov_b32_e32 v1, 0
	s_mul_i32 s17, ttmp9, s17
	s_wait_xcnt 0x0
	s_add_nc_u64 s[0:1], s[0:1], 0x68
	s_add_co_i32 s25, s25, s17
	s_wait_kmcnt 0x0
	v_cmp_neq_f64_e64 s22, s[6:7], 0
	v_cmp_neq_f64_e64 s24, s[2:3], 0
	s_ashr_i32 s17, s16, 31
	s_or_b32 s22, s22, s24
	s_cmp_eq_u32 s23, 0
	s_cselect_b32 s23, ttmp9, s25
	s_add_co_i32 s24, s16, -1
	s_lshl_b64 s[14:15], s[14:15], 4
	s_lshl_b64 s[10:11], s[10:11], 4
	s_branch .LBB62_4
.LBB62_2:                               ;   in Loop: Header=BB62_4 Depth=1
	s_wait_xcnt 0x0
	s_or_b32 exec_lo, exec_lo, s25
.LBB62_3:                               ;   in Loop: Header=BB62_4 Depth=1
	s_add_co_i32 s21, s21, 0x10000
	s_delay_alu instid0(SALU_CYCLE_1)
	s_cmp_lt_u32 s21, s20
	s_cbranch_scc0 .LBB62_7
.LBB62_4:                               ; =>This Inner Loop Header: Depth=1
	s_and_not1_b32 vcc_lo, exec_lo, s22
	s_cbranch_vccnz .LBB62_3
; %bb.5:                                ;   in Loop: Header=BB62_4 Depth=1
	s_load_b32 s25, s[0:1], 0xc
	s_wait_kmcnt 0x0
	s_and_b32 s25, s25, 0xffff
	s_delay_alu instid0(SALU_CYCLE_1) | instskip(SKIP_1) | instid1(VALU_DEP_1)
	v_mad_nc_u64_u32 v[2:3], s25, s23, v[0:1]
	s_mov_b32 s25, exec_lo
	v_cmpx_gt_u64_e64 s[4:5], v[2:3]
	s_cbranch_execz .LBB62_2
; %bb.6:                                ;   in Loop: Header=BB62_4 Depth=1
	v_not_b32_e32 v3, v3
	v_not_b32_e32 v2, v2
	s_load_b64 s[26:27], s[8:9], s21 offset:0x0 scale_offset
	s_delay_alu instid0(VALU_DEP_1) | instskip(NEXT) | instid1(VALU_DEP_1)
	v_add_nc_u64_e32 v[2:3], s[4:5], v[2:3]
	v_lshlrev_b64_e32 v[4:5], 3, v[2:3]
	v_sub_nc_u32_e32 v2, s24, v2
	s_delay_alu instid0(VALU_DEP_2) | instskip(NEXT) | instid1(VALU_DEP_3)
	v_cvt_f64_u32_e32 v[6:7], v5
	v_or_b32_e32 v3, 1, v4
	s_wait_kmcnt 0x0
	s_add_nc_u64 s[26:27], s[26:27], s[10:11]
	s_delay_alu instid0(VALU_DEP_1) | instskip(NEXT) | instid1(VALU_DEP_3)
	v_cvt_f64_u32_e32 v[4:5], v3
	v_ldexp_f64 v[6:7], v[6:7], 32
	s_delay_alu instid0(VALU_DEP_1) | instskip(NEXT) | instid1(VALU_DEP_1)
	v_add_f64_e32 v[4:5], v[6:7], v[4:5]
	v_cmp_gt_f64_e32 vcc_lo, 0x10000000, v[4:5]
	v_cndmask_b32_e64 v3, 0, 0x100, vcc_lo
	s_delay_alu instid0(VALU_DEP_1) | instskip(SKIP_1) | instid1(VALU_DEP_2)
	v_ldexp_f64 v[4:5], v[4:5], v3
	v_cndmask_b32_e64 v3, 0, 0xffffff80, vcc_lo
	v_rsq_f64_e32 v[6:7], v[4:5]
	v_cmp_class_f64_e64 vcc_lo, v[4:5], 0x260
	s_delay_alu instid0(TRANS32_DEP_1) | instskip(SKIP_1) | instid1(VALU_DEP_1)
	v_mul_f64_e32 v[8:9], v[4:5], v[6:7]
	v_mul_f64_e32 v[6:7], 0.5, v[6:7]
	v_fma_f64 v[10:11], -v[6:7], v[8:9], 0.5
	s_delay_alu instid0(VALU_DEP_1) | instskip(SKIP_1) | instid1(VALU_DEP_2)
	v_fmac_f64_e32 v[8:9], v[8:9], v[10:11]
	v_fmac_f64_e32 v[6:7], v[6:7], v[10:11]
	v_fma_f64 v[10:11], -v[8:9], v[8:9], v[4:5]
	s_delay_alu instid0(VALU_DEP_1) | instskip(NEXT) | instid1(VALU_DEP_1)
	v_fmac_f64_e32 v[8:9], v[10:11], v[6:7]
	v_fma_f64 v[10:11], -v[8:9], v[8:9], v[4:5]
	s_delay_alu instid0(VALU_DEP_1) | instskip(NEXT) | instid1(VALU_DEP_1)
	v_fmac_f64_e32 v[8:9], v[10:11], v[6:7]
	v_ldexp_f64 v[6:7], v[8:9], v3
	s_delay_alu instid0(VALU_DEP_1) | instskip(NEXT) | instid1(VALU_DEP_1)
	v_dual_cndmask_b32 v5, v7, v5 :: v_dual_cndmask_b32 v4, v6, v4
	v_add_f64_e32 v[4:5], -1.0, v[4:5]
	s_delay_alu instid0(VALU_DEP_1) | instskip(NEXT) | instid1(VALU_DEP_1)
	v_mul_f64_e32 v[4:5], 0.5, v[4:5]
	v_cvt_i32_f64_e32 v10, v[4:5]
	s_delay_alu instid0(VALU_DEP_1) | instskip(SKIP_1) | instid1(VALU_DEP_1)
	v_mad_u32 v3, v10, v10, v10
	v_ashrrev_i32_e32 v11, 31, v10
	v_sub_nc_u64_e32 v[6:7], s[16:17], v[10:11]
	s_delay_alu instid0(VALU_DEP_3) | instskip(NEXT) | instid1(VALU_DEP_2)
	v_lshrrev_b32_e32 v4, 31, v3
	v_lshl_add_u64 v[6:7], v[6:7], 4, s[26:27]
	s_delay_alu instid0(VALU_DEP_2) | instskip(SKIP_2) | instid1(VALU_DEP_1)
	v_add_nc_u32_e32 v3, v3, v4
	flat_load_b128 v[6:9], v[6:7] offset:-16
	v_ashrrev_i32_e32 v3, 1, v3
	v_dual_add_nc_u32 v12, v2, v3 :: v_dual_sub_nc_u32 v10, s24, v10
	s_delay_alu instid0(VALU_DEP_1)
	v_ashrrev_i32_e32 v13, 31, v12
	flat_load_b128 v[2:5], v12, s[26:27] scale_offset
	v_ashrrev_i32_e32 v11, 31, v10
	s_wait_xcnt 0x0
	s_load_b64 s[26:27], s[12:13], s21 offset:0x0 scale_offset
	s_wait_kmcnt 0x0
	s_add_nc_u64 s[26:27], s[26:27], s[14:15]
	s_wait_loadcnt_dscnt 0x0
	v_mul_f64_e32 v[16:17], s[6:7], v[4:5]
	v_mul_u64_e32 v[10:11], s[18:19], v[10:11]
	v_mul_f64_e32 v[4:5], s[2:3], v[4:5]
	s_delay_alu instid0(VALU_DEP_3) | instskip(NEXT) | instid1(VALU_DEP_3)
	v_fmac_f64_e32 v[16:17], s[2:3], v[2:3]
	v_lshl_add_u64 v[10:11], v[10:11], 4, s[26:27]
	s_delay_alu instid0(VALU_DEP_3) | instskip(NEXT) | instid1(VALU_DEP_2)
	v_fma_f64 v[2:3], s[6:7], v[2:3], -v[4:5]
	v_lshl_add_u64 v[14:15], v[12:13], 4, v[10:11]
	flat_load_b128 v[10:13], v[14:15]
	v_mul_f64_e32 v[4:5], v[8:9], v[16:17]
	v_mul_f64_e32 v[16:17], v[6:7], v[16:17]
	s_delay_alu instid0(VALU_DEP_2) | instskip(NEXT) | instid1(VALU_DEP_2)
	v_fma_f64 v[4:5], v[6:7], v[2:3], -v[4:5]
	v_fmac_f64_e32 v[16:17], v[8:9], v[2:3]
	s_wait_loadcnt_dscnt 0x0
	s_delay_alu instid0(VALU_DEP_2) | instskip(NEXT) | instid1(VALU_DEP_2)
	v_add_f64_e32 v[2:3], v[10:11], v[4:5]
	v_add_f64_e32 v[4:5], v[16:17], v[12:13]
	flat_store_b128 v[14:15], v[2:5]
	s_branch .LBB62_2
.LBB62_7:
	s_endpgm
	.section	.rodata,"a",@progbits
	.p2align	6, 0x0
	.amdhsa_kernel _ZL23rocblas_syr_kernel_inc1ILb0ELi1024E19rocblas_complex_numIdES1_PKPKS1_PKPS1_EvimT2_lT3_llT4_llli
		.amdhsa_group_segment_fixed_size 0
		.amdhsa_private_segment_fixed_size 0
		.amdhsa_kernarg_size 360
		.amdhsa_user_sgpr_count 2
		.amdhsa_user_sgpr_dispatch_ptr 0
		.amdhsa_user_sgpr_queue_ptr 0
		.amdhsa_user_sgpr_kernarg_segment_ptr 1
		.amdhsa_user_sgpr_dispatch_id 0
		.amdhsa_user_sgpr_kernarg_preload_length 0
		.amdhsa_user_sgpr_kernarg_preload_offset 0
		.amdhsa_user_sgpr_private_segment_size 0
		.amdhsa_wavefront_size32 1
		.amdhsa_uses_dynamic_stack 0
		.amdhsa_enable_private_segment 0
		.amdhsa_system_sgpr_workgroup_id_x 1
		.amdhsa_system_sgpr_workgroup_id_y 0
		.amdhsa_system_sgpr_workgroup_id_z 1
		.amdhsa_system_sgpr_workgroup_info 0
		.amdhsa_system_vgpr_workitem_id 0
		.amdhsa_next_free_vgpr 18
		.amdhsa_next_free_sgpr 28
		.amdhsa_named_barrier_count 0
		.amdhsa_reserve_vcc 1
		.amdhsa_float_round_mode_32 0
		.amdhsa_float_round_mode_16_64 0
		.amdhsa_float_denorm_mode_32 3
		.amdhsa_float_denorm_mode_16_64 3
		.amdhsa_fp16_overflow 0
		.amdhsa_memory_ordered 1
		.amdhsa_forward_progress 1
		.amdhsa_inst_pref_size 6
		.amdhsa_round_robin_scheduling 0
		.amdhsa_exception_fp_ieee_invalid_op 0
		.amdhsa_exception_fp_denorm_src 0
		.amdhsa_exception_fp_ieee_div_zero 0
		.amdhsa_exception_fp_ieee_overflow 0
		.amdhsa_exception_fp_ieee_underflow 0
		.amdhsa_exception_fp_ieee_inexact 0
		.amdhsa_exception_int_div_zero 0
	.end_amdhsa_kernel
	.section	.text._ZL23rocblas_syr_kernel_inc1ILb0ELi1024E19rocblas_complex_numIdES1_PKPKS1_PKPS1_EvimT2_lT3_llT4_llli,"axG",@progbits,_ZL23rocblas_syr_kernel_inc1ILb0ELi1024E19rocblas_complex_numIdES1_PKPKS1_PKPS1_EvimT2_lT3_llT4_llli,comdat
.Lfunc_end62:
	.size	_ZL23rocblas_syr_kernel_inc1ILb0ELi1024E19rocblas_complex_numIdES1_PKPKS1_PKPS1_EvimT2_lT3_llT4_llli, .Lfunc_end62-_ZL23rocblas_syr_kernel_inc1ILb0ELi1024E19rocblas_complex_numIdES1_PKPKS1_PKPS1_EvimT2_lT3_llT4_llli
                                        ; -- End function
	.set _ZL23rocblas_syr_kernel_inc1ILb0ELi1024E19rocblas_complex_numIdES1_PKPKS1_PKPS1_EvimT2_lT3_llT4_llli.num_vgpr, 18
	.set _ZL23rocblas_syr_kernel_inc1ILb0ELi1024E19rocblas_complex_numIdES1_PKPKS1_PKPS1_EvimT2_lT3_llT4_llli.num_agpr, 0
	.set _ZL23rocblas_syr_kernel_inc1ILb0ELi1024E19rocblas_complex_numIdES1_PKPKS1_PKPS1_EvimT2_lT3_llT4_llli.numbered_sgpr, 28
	.set _ZL23rocblas_syr_kernel_inc1ILb0ELi1024E19rocblas_complex_numIdES1_PKPKS1_PKPS1_EvimT2_lT3_llT4_llli.num_named_barrier, 0
	.set _ZL23rocblas_syr_kernel_inc1ILb0ELi1024E19rocblas_complex_numIdES1_PKPKS1_PKPS1_EvimT2_lT3_llT4_llli.private_seg_size, 0
	.set _ZL23rocblas_syr_kernel_inc1ILb0ELi1024E19rocblas_complex_numIdES1_PKPKS1_PKPS1_EvimT2_lT3_llT4_llli.uses_vcc, 1
	.set _ZL23rocblas_syr_kernel_inc1ILb0ELi1024E19rocblas_complex_numIdES1_PKPKS1_PKPS1_EvimT2_lT3_llT4_llli.uses_flat_scratch, 0
	.set _ZL23rocblas_syr_kernel_inc1ILb0ELi1024E19rocblas_complex_numIdES1_PKPKS1_PKPS1_EvimT2_lT3_llT4_llli.has_dyn_sized_stack, 0
	.set _ZL23rocblas_syr_kernel_inc1ILb0ELi1024E19rocblas_complex_numIdES1_PKPKS1_PKPS1_EvimT2_lT3_llT4_llli.has_recursion, 0
	.set _ZL23rocblas_syr_kernel_inc1ILb0ELi1024E19rocblas_complex_numIdES1_PKPKS1_PKPS1_EvimT2_lT3_llT4_llli.has_indirect_call, 0
	.section	.AMDGPU.csdata,"",@progbits
; Kernel info:
; codeLenInByte = 768
; TotalNumSgprs: 30
; NumVgprs: 18
; ScratchSize: 0
; MemoryBound: 0
; FloatMode: 240
; IeeeMode: 1
; LDSByteSize: 0 bytes/workgroup (compile time only)
; SGPRBlocks: 0
; VGPRBlocks: 1
; NumSGPRsForWavesPerEU: 30
; NumVGPRsForWavesPerEU: 18
; NamedBarCnt: 0
; Occupancy: 16
; WaveLimiterHint : 1
; COMPUTE_PGM_RSRC2:SCRATCH_EN: 0
; COMPUTE_PGM_RSRC2:USER_SGPR: 2
; COMPUTE_PGM_RSRC2:TRAP_HANDLER: 0
; COMPUTE_PGM_RSRC2:TGID_X_EN: 1
; COMPUTE_PGM_RSRC2:TGID_Y_EN: 0
; COMPUTE_PGM_RSRC2:TGID_Z_EN: 1
; COMPUTE_PGM_RSRC2:TIDIG_COMP_CNT: 0
	.section	.text._ZL18rocblas_syr_kernelILb0ELi1024E19rocblas_complex_numIdES1_PKPKS1_PKPS1_EvimT2_lT3_lllT4_llli,"axG",@progbits,_ZL18rocblas_syr_kernelILb0ELi1024E19rocblas_complex_numIdES1_PKPKS1_PKPS1_EvimT2_lT3_lllT4_llli,comdat
	.globl	_ZL18rocblas_syr_kernelILb0ELi1024E19rocblas_complex_numIdES1_PKPKS1_PKPS1_EvimT2_lT3_lllT4_llli ; -- Begin function _ZL18rocblas_syr_kernelILb0ELi1024E19rocblas_complex_numIdES1_PKPKS1_PKPS1_EvimT2_lT3_lllT4_llli
	.p2align	8
	.type	_ZL18rocblas_syr_kernelILb0ELi1024E19rocblas_complex_numIdES1_PKPKS1_PKPS1_EvimT2_lT3_lllT4_llli,@function
_ZL18rocblas_syr_kernelILb0ELi1024E19rocblas_complex_numIdES1_PKPKS1_PKPS1_EvimT2_lT3_lllT4_llli: ; @_ZL18rocblas_syr_kernelILb0ELi1024E19rocblas_complex_numIdES1_PKPKS1_PKPS1_EvimT2_lT3_lllT4_llli
; %bb.0:
	s_load_b32 s20, s[0:1], 0x68
	s_bfe_u32 s2, ttmp6, 0x40014
	s_lshr_b32 s3, ttmp7, 16
	s_add_co_i32 s2, s2, 1
	s_bfe_u32 s4, ttmp6, 0x40008
	s_mul_i32 s2, s3, s2
	s_getreg_b32 s23, hwreg(HW_REG_IB_STS2, 6, 4)
	s_add_co_i32 s4, s4, s2
	s_cmp_eq_u32 s23, 0
	s_cselect_b32 s21, s3, s4
	s_wait_kmcnt 0x0
	s_cmp_ge_u32 s21, s20
	s_cbranch_scc1 .LBB63_7
; %bb.1:
	s_clause 0x6
	s_load_b128 s[4:7], s[0:1], 0x8
	s_load_b64 s[2:3], s[0:1], 0x18
	s_load_b128 s[8:11], s[0:1], 0x28
	s_load_b32 s25, s[0:1], 0x0
	s_load_b128 s[12:15], s[0:1], 0x48
	s_load_b64 s[16:17], s[0:1], 0x38
	s_load_b64 s[18:19], s[0:1], 0x58
	s_bfe_u32 s26, ttmp6, 0x4000c
	s_and_b32 s27, ttmp6, 15
	s_add_co_i32 s26, s26, 1
	v_mov_b32_e32 v1, 0
	s_mul_i32 s26, ttmp9, s26
	s_wait_xcnt 0x0
	s_add_nc_u64 s[0:1], s[0:1], 0x70
	s_add_co_i32 s27, s27, s26
	s_wait_kmcnt 0x0
	v_cmp_neq_f64_e64 s22, s[6:7], 0
	v_cmp_neq_f64_e64 s24, s[2:3], 0
	s_or_b32 s22, s22, s24
	s_cmp_eq_u32 s23, 0
	s_cselect_b32 s23, ttmp9, s27
	s_add_co_i32 s24, s25, -1
	s_lshl_b64 s[14:15], s[14:15], 4
	s_lshl_b64 s[10:11], s[10:11], 4
	s_branch .LBB63_4
.LBB63_2:                               ;   in Loop: Header=BB63_4 Depth=1
	s_wait_xcnt 0x0
	s_or_b32 exec_lo, exec_lo, s25
.LBB63_3:                               ;   in Loop: Header=BB63_4 Depth=1
	s_add_co_i32 s21, s21, 0x10000
	s_delay_alu instid0(SALU_CYCLE_1)
	s_cmp_lt_u32 s21, s20
	s_cbranch_scc0 .LBB63_7
.LBB63_4:                               ; =>This Inner Loop Header: Depth=1
	s_and_not1_b32 vcc_lo, exec_lo, s22
	s_cbranch_vccnz .LBB63_3
; %bb.5:                                ;   in Loop: Header=BB63_4 Depth=1
	s_load_b32 s25, s[0:1], 0xc
	s_wait_kmcnt 0x0
	s_and_b32 s25, s25, 0xffff
	s_delay_alu instid0(SALU_CYCLE_1) | instskip(SKIP_1) | instid1(VALU_DEP_1)
	v_mad_nc_u64_u32 v[2:3], s25, s23, v[0:1]
	s_mov_b32 s25, exec_lo
	v_cmpx_gt_u64_e64 s[4:5], v[2:3]
	s_cbranch_execz .LBB63_2
; %bb.6:                                ;   in Loop: Header=BB63_4 Depth=1
	v_not_b32_e32 v3, v3
	v_not_b32_e32 v2, v2
	s_load_b64 s[26:27], s[8:9], s21 offset:0x0 scale_offset
	s_delay_alu instid0(VALU_DEP_1) | instskip(NEXT) | instid1(VALU_DEP_1)
	v_add_nc_u64_e32 v[2:3], s[4:5], v[2:3]
	v_lshlrev_b64_e32 v[4:5], 3, v[2:3]
	v_sub_nc_u32_e32 v2, s24, v2
	s_delay_alu instid0(VALU_DEP_2) | instskip(NEXT) | instid1(VALU_DEP_3)
	v_cvt_f64_u32_e32 v[6:7], v5
	v_or_b32_e32 v3, 1, v4
	s_wait_kmcnt 0x0
	s_add_nc_u64 s[26:27], s[26:27], s[10:11]
	s_delay_alu instid0(VALU_DEP_1) | instskip(NEXT) | instid1(VALU_DEP_3)
	v_cvt_f64_u32_e32 v[4:5], v3
	v_ldexp_f64 v[6:7], v[6:7], 32
	s_delay_alu instid0(VALU_DEP_1) | instskip(NEXT) | instid1(VALU_DEP_1)
	v_add_f64_e32 v[4:5], v[6:7], v[4:5]
	v_cmp_gt_f64_e32 vcc_lo, 0x10000000, v[4:5]
	v_cndmask_b32_e64 v3, 0, 0x100, vcc_lo
	s_delay_alu instid0(VALU_DEP_1) | instskip(SKIP_1) | instid1(VALU_DEP_2)
	v_ldexp_f64 v[4:5], v[4:5], v3
	v_cndmask_b32_e64 v3, 0, 0xffffff80, vcc_lo
	v_rsq_f64_e32 v[6:7], v[4:5]
	v_cmp_class_f64_e64 vcc_lo, v[4:5], 0x260
	s_delay_alu instid0(TRANS32_DEP_1) | instskip(SKIP_1) | instid1(VALU_DEP_1)
	v_mul_f64_e32 v[8:9], v[4:5], v[6:7]
	v_mul_f64_e32 v[6:7], 0.5, v[6:7]
	v_fma_f64 v[10:11], -v[6:7], v[8:9], 0.5
	s_delay_alu instid0(VALU_DEP_1) | instskip(SKIP_1) | instid1(VALU_DEP_2)
	v_fmac_f64_e32 v[8:9], v[8:9], v[10:11]
	v_fmac_f64_e32 v[6:7], v[6:7], v[10:11]
	v_fma_f64 v[10:11], -v[8:9], v[8:9], v[4:5]
	s_delay_alu instid0(VALU_DEP_1) | instskip(NEXT) | instid1(VALU_DEP_1)
	v_fmac_f64_e32 v[8:9], v[10:11], v[6:7]
	v_fma_f64 v[10:11], -v[8:9], v[8:9], v[4:5]
	s_delay_alu instid0(VALU_DEP_1) | instskip(NEXT) | instid1(VALU_DEP_1)
	v_fmac_f64_e32 v[8:9], v[10:11], v[6:7]
	v_ldexp_f64 v[6:7], v[8:9], v3
	s_delay_alu instid0(VALU_DEP_1) | instskip(NEXT) | instid1(VALU_DEP_1)
	v_dual_cndmask_b32 v5, v7, v5 :: v_dual_cndmask_b32 v4, v6, v4
	v_add_f64_e32 v[4:5], -1.0, v[4:5]
	s_delay_alu instid0(VALU_DEP_1) | instskip(NEXT) | instid1(VALU_DEP_1)
	v_mul_f64_e32 v[4:5], 0.5, v[4:5]
	v_cvt_i32_f64_e32 v6, v[4:5]
	s_delay_alu instid0(VALU_DEP_1) | instskip(NEXT) | instid1(VALU_DEP_1)
	v_mad_u32 v3, v6, v6, v6
	v_lshrrev_b32_e32 v4, 31, v3
	s_delay_alu instid0(VALU_DEP_1) | instskip(NEXT) | instid1(VALU_DEP_1)
	v_add_nc_u32_e32 v3, v3, v4
	v_ashrrev_i32_e32 v3, 1, v3
	s_delay_alu instid0(VALU_DEP_1) | instskip(NEXT) | instid1(VALU_DEP_1)
	v_add_nc_u32_e32 v10, v2, v3
	v_ashrrev_i32_e32 v11, 31, v10
	s_delay_alu instid0(VALU_DEP_1) | instskip(NEXT) | instid1(VALU_DEP_1)
	v_mul_u64_e32 v[2:3], s[16:17], v[10:11]
	v_lshl_add_u64 v[2:3], v[2:3], 4, s[26:27]
	flat_load_b128 v[2:5], v[2:3]
	v_sub_nc_u32_e32 v12, s24, v6
	s_delay_alu instid0(VALU_DEP_1) | instskip(NEXT) | instid1(VALU_DEP_1)
	v_ashrrev_i32_e32 v13, 31, v12
	v_mul_u64_e32 v[6:7], s[16:17], v[12:13]
	s_delay_alu instid0(VALU_DEP_1)
	v_lshl_add_u64 v[6:7], v[6:7], 4, s[26:27]
	s_load_b64 s[26:27], s[12:13], s21 offset:0x0 scale_offset
	flat_load_b128 v[6:9], v[6:7]
	s_wait_kmcnt 0x0
	s_add_nc_u64 s[26:27], s[26:27], s[14:15]
	s_wait_loadcnt_dscnt 0x101
	v_mul_f64_e32 v[16:17], s[6:7], v[4:5]
	v_mul_f64_e32 v[4:5], s[2:3], v[4:5]
	s_delay_alu instid0(VALU_DEP_2) | instskip(NEXT) | instid1(VALU_DEP_2)
	v_fmac_f64_e32 v[16:17], s[2:3], v[2:3]
	v_fma_f64 v[2:3], s[6:7], v[2:3], -v[4:5]
	v_mul_u64_e32 v[12:13], s[18:19], v[12:13]
	s_wait_loadcnt_dscnt 0x0
	s_delay_alu instid0(VALU_DEP_3) | instskip(SKIP_1) | instid1(VALU_DEP_3)
	v_mul_f64_e32 v[4:5], v[8:9], v[16:17]
	v_mul_f64_e32 v[16:17], v[6:7], v[16:17]
	v_lshl_add_u64 v[12:13], v[12:13], 4, s[26:27]
	s_delay_alu instid0(VALU_DEP_1) | instskip(SKIP_4) | instid1(VALU_DEP_2)
	v_lshl_add_u64 v[14:15], v[10:11], 4, v[12:13]
	flat_load_b128 v[10:13], v[14:15]
	v_fma_f64 v[4:5], v[6:7], v[2:3], -v[4:5]
	v_fmac_f64_e32 v[16:17], v[8:9], v[2:3]
	s_wait_loadcnt_dscnt 0x0
	v_add_f64_e32 v[2:3], v[10:11], v[4:5]
	s_delay_alu instid0(VALU_DEP_2)
	v_add_f64_e32 v[4:5], v[16:17], v[12:13]
	flat_store_b128 v[14:15], v[2:5]
	s_branch .LBB63_2
.LBB63_7:
	s_endpgm
	.section	.rodata,"a",@progbits
	.p2align	6, 0x0
	.amdhsa_kernel _ZL18rocblas_syr_kernelILb0ELi1024E19rocblas_complex_numIdES1_PKPKS1_PKPS1_EvimT2_lT3_lllT4_llli
		.amdhsa_group_segment_fixed_size 0
		.amdhsa_private_segment_fixed_size 0
		.amdhsa_kernarg_size 368
		.amdhsa_user_sgpr_count 2
		.amdhsa_user_sgpr_dispatch_ptr 0
		.amdhsa_user_sgpr_queue_ptr 0
		.amdhsa_user_sgpr_kernarg_segment_ptr 1
		.amdhsa_user_sgpr_dispatch_id 0
		.amdhsa_user_sgpr_kernarg_preload_length 0
		.amdhsa_user_sgpr_kernarg_preload_offset 0
		.amdhsa_user_sgpr_private_segment_size 0
		.amdhsa_wavefront_size32 1
		.amdhsa_uses_dynamic_stack 0
		.amdhsa_enable_private_segment 0
		.amdhsa_system_sgpr_workgroup_id_x 1
		.amdhsa_system_sgpr_workgroup_id_y 0
		.amdhsa_system_sgpr_workgroup_id_z 1
		.amdhsa_system_sgpr_workgroup_info 0
		.amdhsa_system_vgpr_workitem_id 0
		.amdhsa_next_free_vgpr 18
		.amdhsa_next_free_sgpr 28
		.amdhsa_named_barrier_count 0
		.amdhsa_reserve_vcc 1
		.amdhsa_float_round_mode_32 0
		.amdhsa_float_round_mode_16_64 0
		.amdhsa_float_denorm_mode_32 3
		.amdhsa_float_denorm_mode_16_64 3
		.amdhsa_fp16_overflow 0
		.amdhsa_memory_ordered 1
		.amdhsa_forward_progress 1
		.amdhsa_inst_pref_size 7
		.amdhsa_round_robin_scheduling 0
		.amdhsa_exception_fp_ieee_invalid_op 0
		.amdhsa_exception_fp_denorm_src 0
		.amdhsa_exception_fp_ieee_div_zero 0
		.amdhsa_exception_fp_ieee_overflow 0
		.amdhsa_exception_fp_ieee_underflow 0
		.amdhsa_exception_fp_ieee_inexact 0
		.amdhsa_exception_int_div_zero 0
	.end_amdhsa_kernel
	.section	.text._ZL18rocblas_syr_kernelILb0ELi1024E19rocblas_complex_numIdES1_PKPKS1_PKPS1_EvimT2_lT3_lllT4_llli,"axG",@progbits,_ZL18rocblas_syr_kernelILb0ELi1024E19rocblas_complex_numIdES1_PKPKS1_PKPS1_EvimT2_lT3_lllT4_llli,comdat
.Lfunc_end63:
	.size	_ZL18rocblas_syr_kernelILb0ELi1024E19rocblas_complex_numIdES1_PKPKS1_PKPS1_EvimT2_lT3_lllT4_llli, .Lfunc_end63-_ZL18rocblas_syr_kernelILb0ELi1024E19rocblas_complex_numIdES1_PKPKS1_PKPS1_EvimT2_lT3_lllT4_llli
                                        ; -- End function
	.set _ZL18rocblas_syr_kernelILb0ELi1024E19rocblas_complex_numIdES1_PKPKS1_PKPS1_EvimT2_lT3_lllT4_llli.num_vgpr, 18
	.set _ZL18rocblas_syr_kernelILb0ELi1024E19rocblas_complex_numIdES1_PKPKS1_PKPS1_EvimT2_lT3_lllT4_llli.num_agpr, 0
	.set _ZL18rocblas_syr_kernelILb0ELi1024E19rocblas_complex_numIdES1_PKPKS1_PKPS1_EvimT2_lT3_lllT4_llli.numbered_sgpr, 28
	.set _ZL18rocblas_syr_kernelILb0ELi1024E19rocblas_complex_numIdES1_PKPKS1_PKPS1_EvimT2_lT3_lllT4_llli.num_named_barrier, 0
	.set _ZL18rocblas_syr_kernelILb0ELi1024E19rocblas_complex_numIdES1_PKPKS1_PKPS1_EvimT2_lT3_lllT4_llli.private_seg_size, 0
	.set _ZL18rocblas_syr_kernelILb0ELi1024E19rocblas_complex_numIdES1_PKPKS1_PKPS1_EvimT2_lT3_lllT4_llli.uses_vcc, 1
	.set _ZL18rocblas_syr_kernelILb0ELi1024E19rocblas_complex_numIdES1_PKPKS1_PKPS1_EvimT2_lT3_lllT4_llli.uses_flat_scratch, 0
	.set _ZL18rocblas_syr_kernelILb0ELi1024E19rocblas_complex_numIdES1_PKPKS1_PKPS1_EvimT2_lT3_lllT4_llli.has_dyn_sized_stack, 0
	.set _ZL18rocblas_syr_kernelILb0ELi1024E19rocblas_complex_numIdES1_PKPKS1_PKPS1_EvimT2_lT3_lllT4_llli.has_recursion, 0
	.set _ZL18rocblas_syr_kernelILb0ELi1024E19rocblas_complex_numIdES1_PKPKS1_PKPS1_EvimT2_lT3_lllT4_llli.has_indirect_call, 0
	.section	.AMDGPU.csdata,"",@progbits
; Kernel info:
; codeLenInByte = 784
; TotalNumSgprs: 30
; NumVgprs: 18
; ScratchSize: 0
; MemoryBound: 0
; FloatMode: 240
; IeeeMode: 1
; LDSByteSize: 0 bytes/workgroup (compile time only)
; SGPRBlocks: 0
; VGPRBlocks: 1
; NumSGPRsForWavesPerEU: 30
; NumVGPRsForWavesPerEU: 18
; NamedBarCnt: 0
; Occupancy: 16
; WaveLimiterHint : 1
; COMPUTE_PGM_RSRC2:SCRATCH_EN: 0
; COMPUTE_PGM_RSRC2:USER_SGPR: 2
; COMPUTE_PGM_RSRC2:TRAP_HANDLER: 0
; COMPUTE_PGM_RSRC2:TGID_X_EN: 1
; COMPUTE_PGM_RSRC2:TGID_Y_EN: 0
; COMPUTE_PGM_RSRC2:TGID_Z_EN: 1
; COMPUTE_PGM_RSRC2:TIDIG_COMP_CNT: 0
	.section	.AMDGPU.gpr_maximums,"",@progbits
	.set amdgpu.max_num_vgpr, 0
	.set amdgpu.max_num_agpr, 0
	.set amdgpu.max_num_sgpr, 0
	.section	.AMDGPU.csdata,"",@progbits
	.type	__hip_cuid_9b7b1e114958c5a5,@object ; @__hip_cuid_9b7b1e114958c5a5
	.section	.bss,"aw",@nobits
	.globl	__hip_cuid_9b7b1e114958c5a5
__hip_cuid_9b7b1e114958c5a5:
	.byte	0                               ; 0x0
	.size	__hip_cuid_9b7b1e114958c5a5, 1

	.ident	"AMD clang version 22.0.0git (https://github.com/RadeonOpenCompute/llvm-project roc-7.2.4 26084 f58b06dce1f9c15707c5f808fd002e18c2accf7e)"
	.section	".note.GNU-stack","",@progbits
	.addrsig
	.addrsig_sym __hip_cuid_9b7b1e114958c5a5
	.amdgpu_metadata
---
amdhsa.kernels:
  - .args:
      - .offset:         0
        .size:           4
        .value_kind:     by_value
      - .offset:         8
        .size:           8
        .value_kind:     by_value
      - .address_space:  global
        .offset:         16
        .size:           8
        .value_kind:     global_buffer
      - .offset:         24
        .size:           8
        .value_kind:     by_value
      - .address_space:  global
        .offset:         32
        .size:           8
        .value_kind:     global_buffer
      - .offset:         40
        .size:           8
        .value_kind:     by_value
      - .offset:         48
        .size:           8
        .value_kind:     by_value
      - .address_space:  global
        .offset:         56
        .size:           8
        .value_kind:     global_buffer
      - .offset:         64
        .size:           8
        .value_kind:     by_value
      - .offset:         72
        .size:           8
        .value_kind:     by_value
      - .offset:         80
        .size:           8
        .value_kind:     by_value
      - .offset:         88
        .size:           4
        .value_kind:     by_value
      - .offset:         96
        .size:           4
        .value_kind:     hidden_block_count_x
      - .offset:         100
        .size:           4
        .value_kind:     hidden_block_count_y
      - .offset:         104
        .size:           4
        .value_kind:     hidden_block_count_z
      - .offset:         108
        .size:           2
        .value_kind:     hidden_group_size_x
      - .offset:         110
        .size:           2
        .value_kind:     hidden_group_size_y
      - .offset:         112
        .size:           2
        .value_kind:     hidden_group_size_z
      - .offset:         114
        .size:           2
        .value_kind:     hidden_remainder_x
      - .offset:         116
        .size:           2
        .value_kind:     hidden_remainder_y
      - .offset:         118
        .size:           2
        .value_kind:     hidden_remainder_z
      - .offset:         136
        .size:           8
        .value_kind:     hidden_global_offset_x
      - .offset:         144
        .size:           8
        .value_kind:     hidden_global_offset_y
      - .offset:         152
        .size:           8
        .value_kind:     hidden_global_offset_z
      - .offset:         160
        .size:           2
        .value_kind:     hidden_grid_dims
    .group_segment_fixed_size: 0
    .kernarg_segment_align: 8
    .kernarg_segment_size: 352
    .language:       OpenCL C
    .language_version:
      - 2
      - 0
    .max_flat_workgroup_size: 1024
    .name:           _ZL23rocblas_syr_kernel_inc1ILb1ELi1024EfPKfS1_PfEvimT2_lT3_llT4_llli
    .private_segment_fixed_size: 0
    .sgpr_count:     31
    .sgpr_spill_count: 0
    .symbol:         _ZL23rocblas_syr_kernel_inc1ILb1ELi1024EfPKfS1_PfEvimT2_lT3_llT4_llli.kd
    .uniform_work_group_size: 1
    .uses_dynamic_stack: false
    .vgpr_count:     14
    .vgpr_spill_count: 0
    .wavefront_size: 32
  - .args:
      - .offset:         0
        .size:           4
        .value_kind:     by_value
      - .offset:         8
        .size:           8
        .value_kind:     by_value
      - .address_space:  global
        .offset:         16
        .size:           8
        .value_kind:     global_buffer
      - .offset:         24
        .size:           8
        .value_kind:     by_value
      - .address_space:  global
        .offset:         32
        .size:           8
        .value_kind:     global_buffer
      - .offset:         40
        .size:           8
        .value_kind:     by_value
      - .offset:         48
        .size:           8
        .value_kind:     by_value
      - .offset:         56
        .size:           8
        .value_kind:     by_value
      - .address_space:  global
        .offset:         64
        .size:           8
        .value_kind:     global_buffer
      - .offset:         72
        .size:           8
        .value_kind:     by_value
      - .offset:         80
        .size:           8
        .value_kind:     by_value
      - .offset:         88
        .size:           8
        .value_kind:     by_value
      - .offset:         96
        .size:           4
        .value_kind:     by_value
      - .offset:         104
        .size:           4
        .value_kind:     hidden_block_count_x
      - .offset:         108
        .size:           4
        .value_kind:     hidden_block_count_y
      - .offset:         112
        .size:           4
        .value_kind:     hidden_block_count_z
      - .offset:         116
        .size:           2
        .value_kind:     hidden_group_size_x
      - .offset:         118
        .size:           2
        .value_kind:     hidden_group_size_y
      - .offset:         120
        .size:           2
        .value_kind:     hidden_group_size_z
      - .offset:         122
        .size:           2
        .value_kind:     hidden_remainder_x
      - .offset:         124
        .size:           2
        .value_kind:     hidden_remainder_y
      - .offset:         126
        .size:           2
        .value_kind:     hidden_remainder_z
      - .offset:         144
        .size:           8
        .value_kind:     hidden_global_offset_x
      - .offset:         152
        .size:           8
        .value_kind:     hidden_global_offset_y
      - .offset:         160
        .size:           8
        .value_kind:     hidden_global_offset_z
      - .offset:         168
        .size:           2
        .value_kind:     hidden_grid_dims
    .group_segment_fixed_size: 0
    .kernarg_segment_align: 8
    .kernarg_segment_size: 360
    .language:       OpenCL C
    .language_version:
      - 2
      - 0
    .max_flat_workgroup_size: 1024
    .name:           _ZL18rocblas_syr_kernelILb1ELi1024EfPKfS1_PfEvimT2_lT3_lllT4_llli
    .private_segment_fixed_size: 0
    .sgpr_count:     33
    .sgpr_spill_count: 0
    .symbol:         _ZL18rocblas_syr_kernelILb1ELi1024EfPKfS1_PfEvimT2_lT3_lllT4_llli.kd
    .uniform_work_group_size: 1
    .uses_dynamic_stack: false
    .vgpr_count:     14
    .vgpr_spill_count: 0
    .wavefront_size: 32
  - .args:
      - .offset:         0
        .size:           4
        .value_kind:     by_value
      - .offset:         8
        .size:           8
        .value_kind:     by_value
      - .address_space:  global
        .offset:         16
        .size:           8
        .value_kind:     global_buffer
      - .offset:         24
        .size:           8
        .value_kind:     by_value
      - .address_space:  global
        .offset:         32
        .size:           8
        .value_kind:     global_buffer
      - .offset:         40
        .size:           8
        .value_kind:     by_value
      - .offset:         48
        .size:           8
        .value_kind:     by_value
      - .address_space:  global
        .offset:         56
        .size:           8
        .value_kind:     global_buffer
      - .offset:         64
        .size:           8
        .value_kind:     by_value
      - .offset:         72
        .size:           8
        .value_kind:     by_value
      - .offset:         80
        .size:           8
        .value_kind:     by_value
      - .offset:         88
        .size:           4
        .value_kind:     by_value
      - .offset:         96
        .size:           4
        .value_kind:     hidden_block_count_x
      - .offset:         100
        .size:           4
        .value_kind:     hidden_block_count_y
      - .offset:         104
        .size:           4
        .value_kind:     hidden_block_count_z
      - .offset:         108
        .size:           2
        .value_kind:     hidden_group_size_x
      - .offset:         110
        .size:           2
        .value_kind:     hidden_group_size_y
      - .offset:         112
        .size:           2
        .value_kind:     hidden_group_size_z
      - .offset:         114
        .size:           2
        .value_kind:     hidden_remainder_x
      - .offset:         116
        .size:           2
        .value_kind:     hidden_remainder_y
      - .offset:         118
        .size:           2
        .value_kind:     hidden_remainder_z
      - .offset:         136
        .size:           8
        .value_kind:     hidden_global_offset_x
      - .offset:         144
        .size:           8
        .value_kind:     hidden_global_offset_y
      - .offset:         152
        .size:           8
        .value_kind:     hidden_global_offset_z
      - .offset:         160
        .size:           2
        .value_kind:     hidden_grid_dims
    .group_segment_fixed_size: 0
    .kernarg_segment_align: 8
    .kernarg_segment_size: 352
    .language:       OpenCL C
    .language_version:
      - 2
      - 0
    .max_flat_workgroup_size: 1024
    .name:           _ZL23rocblas_syr_kernel_inc1ILb0ELi1024EfPKfS1_PfEvimT2_lT3_llT4_llli
    .private_segment_fixed_size: 0
    .sgpr_count:     34
    .sgpr_spill_count: 0
    .symbol:         _ZL23rocblas_syr_kernel_inc1ILb0ELi1024EfPKfS1_PfEvimT2_lT3_llT4_llli.kd
    .uniform_work_group_size: 1
    .uses_dynamic_stack: false
    .vgpr_count:     14
    .vgpr_spill_count: 0
    .wavefront_size: 32
  - .args:
      - .offset:         0
        .size:           4
        .value_kind:     by_value
      - .offset:         8
        .size:           8
        .value_kind:     by_value
      - .address_space:  global
        .offset:         16
        .size:           8
        .value_kind:     global_buffer
      - .offset:         24
        .size:           8
        .value_kind:     by_value
      - .address_space:  global
        .offset:         32
        .size:           8
        .value_kind:     global_buffer
      - .offset:         40
        .size:           8
        .value_kind:     by_value
      - .offset:         48
        .size:           8
        .value_kind:     by_value
      - .offset:         56
        .size:           8
        .value_kind:     by_value
      - .address_space:  global
        .offset:         64
        .size:           8
        .value_kind:     global_buffer
      - .offset:         72
        .size:           8
        .value_kind:     by_value
      - .offset:         80
        .size:           8
        .value_kind:     by_value
      - .offset:         88
        .size:           8
        .value_kind:     by_value
      - .offset:         96
        .size:           4
        .value_kind:     by_value
      - .offset:         104
        .size:           4
        .value_kind:     hidden_block_count_x
      - .offset:         108
        .size:           4
        .value_kind:     hidden_block_count_y
      - .offset:         112
        .size:           4
        .value_kind:     hidden_block_count_z
      - .offset:         116
        .size:           2
        .value_kind:     hidden_group_size_x
      - .offset:         118
        .size:           2
        .value_kind:     hidden_group_size_y
      - .offset:         120
        .size:           2
        .value_kind:     hidden_group_size_z
      - .offset:         122
        .size:           2
        .value_kind:     hidden_remainder_x
      - .offset:         124
        .size:           2
        .value_kind:     hidden_remainder_y
      - .offset:         126
        .size:           2
        .value_kind:     hidden_remainder_z
      - .offset:         144
        .size:           8
        .value_kind:     hidden_global_offset_x
      - .offset:         152
        .size:           8
        .value_kind:     hidden_global_offset_y
      - .offset:         160
        .size:           8
        .value_kind:     hidden_global_offset_z
      - .offset:         168
        .size:           2
        .value_kind:     hidden_grid_dims
    .group_segment_fixed_size: 0
    .kernarg_segment_align: 8
    .kernarg_segment_size: 360
    .language:       OpenCL C
    .language_version:
      - 2
      - 0
    .max_flat_workgroup_size: 1024
    .name:           _ZL18rocblas_syr_kernelILb0ELi1024EfPKfS1_PfEvimT2_lT3_lllT4_llli
    .private_segment_fixed_size: 0
    .sgpr_count:     34
    .sgpr_spill_count: 0
    .symbol:         _ZL18rocblas_syr_kernelILb0ELi1024EfPKfS1_PfEvimT2_lT3_lllT4_llli.kd
    .uniform_work_group_size: 1
    .uses_dynamic_stack: false
    .vgpr_count:     14
    .vgpr_spill_count: 0
    .wavefront_size: 32
  - .args:
      - .offset:         0
        .size:           4
        .value_kind:     by_value
      - .offset:         8
        .size:           8
        .value_kind:     by_value
      - .offset:         16
        .size:           4
        .value_kind:     by_value
      - .offset:         24
        .size:           8
        .value_kind:     by_value
      - .address_space:  global
        .offset:         32
        .size:           8
        .value_kind:     global_buffer
      - .offset:         40
        .size:           8
        .value_kind:     by_value
      - .offset:         48
        .size:           8
        .value_kind:     by_value
      - .address_space:  global
        .offset:         56
        .size:           8
        .value_kind:     global_buffer
      - .offset:         64
        .size:           8
        .value_kind:     by_value
      - .offset:         72
        .size:           8
        .value_kind:     by_value
      - .offset:         80
        .size:           8
        .value_kind:     by_value
      - .offset:         88
        .size:           4
        .value_kind:     by_value
      - .offset:         96
        .size:           4
        .value_kind:     hidden_block_count_x
      - .offset:         100
        .size:           4
        .value_kind:     hidden_block_count_y
      - .offset:         104
        .size:           4
        .value_kind:     hidden_block_count_z
      - .offset:         108
        .size:           2
        .value_kind:     hidden_group_size_x
      - .offset:         110
        .size:           2
        .value_kind:     hidden_group_size_y
      - .offset:         112
        .size:           2
        .value_kind:     hidden_group_size_z
      - .offset:         114
        .size:           2
        .value_kind:     hidden_remainder_x
      - .offset:         116
        .size:           2
        .value_kind:     hidden_remainder_y
      - .offset:         118
        .size:           2
        .value_kind:     hidden_remainder_z
      - .offset:         136
        .size:           8
        .value_kind:     hidden_global_offset_x
      - .offset:         144
        .size:           8
        .value_kind:     hidden_global_offset_y
      - .offset:         152
        .size:           8
        .value_kind:     hidden_global_offset_z
      - .offset:         160
        .size:           2
        .value_kind:     hidden_grid_dims
    .group_segment_fixed_size: 0
    .kernarg_segment_align: 8
    .kernarg_segment_size: 352
    .language:       OpenCL C
    .language_version:
      - 2
      - 0
    .max_flat_workgroup_size: 1024
    .name:           _ZL23rocblas_syr_kernel_inc1ILb1ELi1024EffPKfPfEvimT2_lT3_llT4_llli
    .private_segment_fixed_size: 0
    .sgpr_count:     28
    .sgpr_spill_count: 0
    .symbol:         _ZL23rocblas_syr_kernel_inc1ILb1ELi1024EffPKfPfEvimT2_lT3_llT4_llli.kd
    .uniform_work_group_size: 1
    .uses_dynamic_stack: false
    .vgpr_count:     12
    .vgpr_spill_count: 0
    .wavefront_size: 32
  - .args:
      - .offset:         0
        .size:           4
        .value_kind:     by_value
      - .offset:         8
        .size:           8
        .value_kind:     by_value
      - .offset:         16
        .size:           4
        .value_kind:     by_value
      - .offset:         24
        .size:           8
        .value_kind:     by_value
      - .address_space:  global
        .offset:         32
        .size:           8
        .value_kind:     global_buffer
      - .offset:         40
        .size:           8
        .value_kind:     by_value
      - .offset:         48
        .size:           8
        .value_kind:     by_value
      - .offset:         56
        .size:           8
        .value_kind:     by_value
      - .address_space:  global
        .offset:         64
        .size:           8
        .value_kind:     global_buffer
      - .offset:         72
        .size:           8
        .value_kind:     by_value
      - .offset:         80
        .size:           8
        .value_kind:     by_value
      - .offset:         88
        .size:           8
        .value_kind:     by_value
      - .offset:         96
        .size:           4
        .value_kind:     by_value
      - .offset:         104
        .size:           4
        .value_kind:     hidden_block_count_x
      - .offset:         108
        .size:           4
        .value_kind:     hidden_block_count_y
      - .offset:         112
        .size:           4
        .value_kind:     hidden_block_count_z
      - .offset:         116
        .size:           2
        .value_kind:     hidden_group_size_x
      - .offset:         118
        .size:           2
        .value_kind:     hidden_group_size_y
      - .offset:         120
        .size:           2
        .value_kind:     hidden_group_size_z
      - .offset:         122
        .size:           2
        .value_kind:     hidden_remainder_x
      - .offset:         124
        .size:           2
        .value_kind:     hidden_remainder_y
      - .offset:         126
        .size:           2
        .value_kind:     hidden_remainder_z
      - .offset:         144
        .size:           8
        .value_kind:     hidden_global_offset_x
      - .offset:         152
        .size:           8
        .value_kind:     hidden_global_offset_y
      - .offset:         160
        .size:           8
        .value_kind:     hidden_global_offset_z
      - .offset:         168
        .size:           2
        .value_kind:     hidden_grid_dims
    .group_segment_fixed_size: 0
    .kernarg_segment_align: 8
    .kernarg_segment_size: 360
    .language:       OpenCL C
    .language_version:
      - 2
      - 0
    .max_flat_workgroup_size: 1024
    .name:           _ZL18rocblas_syr_kernelILb1ELi1024EffPKfPfEvimT2_lT3_lllT4_llli
    .private_segment_fixed_size: 0
    .sgpr_count:     32
    .sgpr_spill_count: 0
    .symbol:         _ZL18rocblas_syr_kernelILb1ELi1024EffPKfPfEvimT2_lT3_lllT4_llli.kd
    .uniform_work_group_size: 1
    .uses_dynamic_stack: false
    .vgpr_count:     12
    .vgpr_spill_count: 0
    .wavefront_size: 32
  - .args:
      - .offset:         0
        .size:           4
        .value_kind:     by_value
      - .offset:         8
        .size:           8
        .value_kind:     by_value
      - .offset:         16
        .size:           4
        .value_kind:     by_value
      - .offset:         24
        .size:           8
        .value_kind:     by_value
      - .address_space:  global
        .offset:         32
        .size:           8
        .value_kind:     global_buffer
      - .offset:         40
        .size:           8
        .value_kind:     by_value
      - .offset:         48
        .size:           8
        .value_kind:     by_value
      - .address_space:  global
        .offset:         56
        .size:           8
        .value_kind:     global_buffer
      - .offset:         64
        .size:           8
        .value_kind:     by_value
      - .offset:         72
        .size:           8
        .value_kind:     by_value
      - .offset:         80
        .size:           8
        .value_kind:     by_value
      - .offset:         88
        .size:           4
        .value_kind:     by_value
      - .offset:         96
        .size:           4
        .value_kind:     hidden_block_count_x
      - .offset:         100
        .size:           4
        .value_kind:     hidden_block_count_y
      - .offset:         104
        .size:           4
        .value_kind:     hidden_block_count_z
      - .offset:         108
        .size:           2
        .value_kind:     hidden_group_size_x
      - .offset:         110
        .size:           2
        .value_kind:     hidden_group_size_y
      - .offset:         112
        .size:           2
        .value_kind:     hidden_group_size_z
      - .offset:         114
        .size:           2
        .value_kind:     hidden_remainder_x
      - .offset:         116
        .size:           2
        .value_kind:     hidden_remainder_y
      - .offset:         118
        .size:           2
        .value_kind:     hidden_remainder_z
      - .offset:         136
        .size:           8
        .value_kind:     hidden_global_offset_x
      - .offset:         144
        .size:           8
        .value_kind:     hidden_global_offset_y
      - .offset:         152
        .size:           8
        .value_kind:     hidden_global_offset_z
      - .offset:         160
        .size:           2
        .value_kind:     hidden_grid_dims
    .group_segment_fixed_size: 0
    .kernarg_segment_align: 8
    .kernarg_segment_size: 352
    .language:       OpenCL C
    .language_version:
      - 2
      - 0
    .max_flat_workgroup_size: 1024
    .name:           _ZL23rocblas_syr_kernel_inc1ILb0ELi1024EffPKfPfEvimT2_lT3_llT4_llli
    .private_segment_fixed_size: 0
    .sgpr_count:     30
    .sgpr_spill_count: 0
    .symbol:         _ZL23rocblas_syr_kernel_inc1ILb0ELi1024EffPKfPfEvimT2_lT3_llT4_llli.kd
    .uniform_work_group_size: 1
    .uses_dynamic_stack: false
    .vgpr_count:     12
    .vgpr_spill_count: 0
    .wavefront_size: 32
  - .args:
      - .offset:         0
        .size:           4
        .value_kind:     by_value
      - .offset:         8
        .size:           8
        .value_kind:     by_value
      - .offset:         16
        .size:           4
        .value_kind:     by_value
      - .offset:         24
        .size:           8
        .value_kind:     by_value
      - .address_space:  global
        .offset:         32
        .size:           8
        .value_kind:     global_buffer
      - .offset:         40
        .size:           8
        .value_kind:     by_value
      - .offset:         48
        .size:           8
        .value_kind:     by_value
      - .offset:         56
        .size:           8
        .value_kind:     by_value
      - .address_space:  global
        .offset:         64
        .size:           8
        .value_kind:     global_buffer
      - .offset:         72
        .size:           8
        .value_kind:     by_value
      - .offset:         80
        .size:           8
        .value_kind:     by_value
      - .offset:         88
        .size:           8
        .value_kind:     by_value
      - .offset:         96
        .size:           4
        .value_kind:     by_value
      - .offset:         104
        .size:           4
        .value_kind:     hidden_block_count_x
      - .offset:         108
        .size:           4
        .value_kind:     hidden_block_count_y
      - .offset:         112
        .size:           4
        .value_kind:     hidden_block_count_z
      - .offset:         116
        .size:           2
        .value_kind:     hidden_group_size_x
      - .offset:         118
        .size:           2
        .value_kind:     hidden_group_size_y
      - .offset:         120
        .size:           2
        .value_kind:     hidden_group_size_z
      - .offset:         122
        .size:           2
        .value_kind:     hidden_remainder_x
      - .offset:         124
        .size:           2
        .value_kind:     hidden_remainder_y
      - .offset:         126
        .size:           2
        .value_kind:     hidden_remainder_z
      - .offset:         144
        .size:           8
        .value_kind:     hidden_global_offset_x
      - .offset:         152
        .size:           8
        .value_kind:     hidden_global_offset_y
      - .offset:         160
        .size:           8
        .value_kind:     hidden_global_offset_z
      - .offset:         168
        .size:           2
        .value_kind:     hidden_grid_dims
    .group_segment_fixed_size: 0
    .kernarg_segment_align: 8
    .kernarg_segment_size: 360
    .language:       OpenCL C
    .language_version:
      - 2
      - 0
    .max_flat_workgroup_size: 1024
    .name:           _ZL18rocblas_syr_kernelILb0ELi1024EffPKfPfEvimT2_lT3_lllT4_llli
    .private_segment_fixed_size: 0
    .sgpr_count:     32
    .sgpr_spill_count: 0
    .symbol:         _ZL18rocblas_syr_kernelILb0ELi1024EffPKfPfEvimT2_lT3_lllT4_llli.kd
    .uniform_work_group_size: 1
    .uses_dynamic_stack: false
    .vgpr_count:     12
    .vgpr_spill_count: 0
    .wavefront_size: 32
  - .args:
      - .offset:         0
        .size:           4
        .value_kind:     by_value
      - .offset:         8
        .size:           8
        .value_kind:     by_value
      - .address_space:  global
        .offset:         16
        .size:           8
        .value_kind:     global_buffer
      - .offset:         24
        .size:           8
        .value_kind:     by_value
      - .address_space:  global
        .offset:         32
        .size:           8
        .value_kind:     global_buffer
      - .offset:         40
        .size:           8
        .value_kind:     by_value
      - .offset:         48
        .size:           8
        .value_kind:     by_value
      - .address_space:  global
        .offset:         56
        .size:           8
        .value_kind:     global_buffer
      - .offset:         64
        .size:           8
        .value_kind:     by_value
      - .offset:         72
        .size:           8
        .value_kind:     by_value
      - .offset:         80
        .size:           8
        .value_kind:     by_value
      - .offset:         88
        .size:           4
        .value_kind:     by_value
      - .offset:         96
        .size:           4
        .value_kind:     hidden_block_count_x
      - .offset:         100
        .size:           4
        .value_kind:     hidden_block_count_y
      - .offset:         104
        .size:           4
        .value_kind:     hidden_block_count_z
      - .offset:         108
        .size:           2
        .value_kind:     hidden_group_size_x
      - .offset:         110
        .size:           2
        .value_kind:     hidden_group_size_y
      - .offset:         112
        .size:           2
        .value_kind:     hidden_group_size_z
      - .offset:         114
        .size:           2
        .value_kind:     hidden_remainder_x
      - .offset:         116
        .size:           2
        .value_kind:     hidden_remainder_y
      - .offset:         118
        .size:           2
        .value_kind:     hidden_remainder_z
      - .offset:         136
        .size:           8
        .value_kind:     hidden_global_offset_x
      - .offset:         144
        .size:           8
        .value_kind:     hidden_global_offset_y
      - .offset:         152
        .size:           8
        .value_kind:     hidden_global_offset_z
      - .offset:         160
        .size:           2
        .value_kind:     hidden_grid_dims
    .group_segment_fixed_size: 0
    .kernarg_segment_align: 8
    .kernarg_segment_size: 352
    .language:       OpenCL C
    .language_version:
      - 2
      - 0
    .max_flat_workgroup_size: 1024
    .name:           _ZL23rocblas_syr_kernel_inc1ILb1ELi1024EdPKdS1_PdEvimT2_lT3_llT4_llli
    .private_segment_fixed_size: 0
    .sgpr_count:     31
    .sgpr_spill_count: 0
    .symbol:         _ZL23rocblas_syr_kernel_inc1ILb1ELi1024EdPKdS1_PdEvimT2_lT3_llT4_llli.kd
    .uniform_work_group_size: 1
    .uses_dynamic_stack: false
    .vgpr_count:     14
    .vgpr_spill_count: 0
    .wavefront_size: 32
  - .args:
      - .offset:         0
        .size:           4
        .value_kind:     by_value
      - .offset:         8
        .size:           8
        .value_kind:     by_value
      - .address_space:  global
        .offset:         16
        .size:           8
        .value_kind:     global_buffer
      - .offset:         24
        .size:           8
        .value_kind:     by_value
      - .address_space:  global
        .offset:         32
        .size:           8
        .value_kind:     global_buffer
      - .offset:         40
        .size:           8
        .value_kind:     by_value
      - .offset:         48
        .size:           8
        .value_kind:     by_value
      - .offset:         56
        .size:           8
        .value_kind:     by_value
      - .address_space:  global
        .offset:         64
        .size:           8
        .value_kind:     global_buffer
      - .offset:         72
        .size:           8
        .value_kind:     by_value
      - .offset:         80
        .size:           8
        .value_kind:     by_value
      - .offset:         88
        .size:           8
        .value_kind:     by_value
      - .offset:         96
        .size:           4
        .value_kind:     by_value
      - .offset:         104
        .size:           4
        .value_kind:     hidden_block_count_x
      - .offset:         108
        .size:           4
        .value_kind:     hidden_block_count_y
      - .offset:         112
        .size:           4
        .value_kind:     hidden_block_count_z
      - .offset:         116
        .size:           2
        .value_kind:     hidden_group_size_x
      - .offset:         118
        .size:           2
        .value_kind:     hidden_group_size_y
      - .offset:         120
        .size:           2
        .value_kind:     hidden_group_size_z
      - .offset:         122
        .size:           2
        .value_kind:     hidden_remainder_x
      - .offset:         124
        .size:           2
        .value_kind:     hidden_remainder_y
      - .offset:         126
        .size:           2
        .value_kind:     hidden_remainder_z
      - .offset:         144
        .size:           8
        .value_kind:     hidden_global_offset_x
      - .offset:         152
        .size:           8
        .value_kind:     hidden_global_offset_y
      - .offset:         160
        .size:           8
        .value_kind:     hidden_global_offset_z
      - .offset:         168
        .size:           2
        .value_kind:     hidden_grid_dims
    .group_segment_fixed_size: 0
    .kernarg_segment_align: 8
    .kernarg_segment_size: 360
    .language:       OpenCL C
    .language_version:
      - 2
      - 0
    .max_flat_workgroup_size: 1024
    .name:           _ZL18rocblas_syr_kernelILb1ELi1024EdPKdS1_PdEvimT2_lT3_lllT4_llli
    .private_segment_fixed_size: 0
    .sgpr_count:     33
    .sgpr_spill_count: 0
    .symbol:         _ZL18rocblas_syr_kernelILb1ELi1024EdPKdS1_PdEvimT2_lT3_lllT4_llli.kd
    .uniform_work_group_size: 1
    .uses_dynamic_stack: false
    .vgpr_count:     14
    .vgpr_spill_count: 0
    .wavefront_size: 32
  - .args:
      - .offset:         0
        .size:           4
        .value_kind:     by_value
      - .offset:         8
        .size:           8
        .value_kind:     by_value
      - .address_space:  global
        .offset:         16
        .size:           8
        .value_kind:     global_buffer
      - .offset:         24
        .size:           8
        .value_kind:     by_value
      - .address_space:  global
        .offset:         32
        .size:           8
        .value_kind:     global_buffer
      - .offset:         40
        .size:           8
        .value_kind:     by_value
      - .offset:         48
        .size:           8
        .value_kind:     by_value
      - .address_space:  global
        .offset:         56
        .size:           8
        .value_kind:     global_buffer
      - .offset:         64
        .size:           8
        .value_kind:     by_value
      - .offset:         72
        .size:           8
        .value_kind:     by_value
      - .offset:         80
        .size:           8
        .value_kind:     by_value
      - .offset:         88
        .size:           4
        .value_kind:     by_value
      - .offset:         96
        .size:           4
        .value_kind:     hidden_block_count_x
      - .offset:         100
        .size:           4
        .value_kind:     hidden_block_count_y
      - .offset:         104
        .size:           4
        .value_kind:     hidden_block_count_z
      - .offset:         108
        .size:           2
        .value_kind:     hidden_group_size_x
      - .offset:         110
        .size:           2
        .value_kind:     hidden_group_size_y
      - .offset:         112
        .size:           2
        .value_kind:     hidden_group_size_z
      - .offset:         114
        .size:           2
        .value_kind:     hidden_remainder_x
      - .offset:         116
        .size:           2
        .value_kind:     hidden_remainder_y
      - .offset:         118
        .size:           2
        .value_kind:     hidden_remainder_z
      - .offset:         136
        .size:           8
        .value_kind:     hidden_global_offset_x
      - .offset:         144
        .size:           8
        .value_kind:     hidden_global_offset_y
      - .offset:         152
        .size:           8
        .value_kind:     hidden_global_offset_z
      - .offset:         160
        .size:           2
        .value_kind:     hidden_grid_dims
    .group_segment_fixed_size: 0
    .kernarg_segment_align: 8
    .kernarg_segment_size: 352
    .language:       OpenCL C
    .language_version:
      - 2
      - 0
    .max_flat_workgroup_size: 1024
    .name:           _ZL23rocblas_syr_kernel_inc1ILb0ELi1024EdPKdS1_PdEvimT2_lT3_llT4_llli
    .private_segment_fixed_size: 0
    .sgpr_count:     34
    .sgpr_spill_count: 0
    .symbol:         _ZL23rocblas_syr_kernel_inc1ILb0ELi1024EdPKdS1_PdEvimT2_lT3_llT4_llli.kd
    .uniform_work_group_size: 1
    .uses_dynamic_stack: false
    .vgpr_count:     14
    .vgpr_spill_count: 0
    .wavefront_size: 32
  - .args:
      - .offset:         0
        .size:           4
        .value_kind:     by_value
      - .offset:         8
        .size:           8
        .value_kind:     by_value
      - .address_space:  global
        .offset:         16
        .size:           8
        .value_kind:     global_buffer
      - .offset:         24
        .size:           8
        .value_kind:     by_value
      - .address_space:  global
        .offset:         32
        .size:           8
        .value_kind:     global_buffer
      - .offset:         40
        .size:           8
        .value_kind:     by_value
      - .offset:         48
        .size:           8
        .value_kind:     by_value
      - .offset:         56
        .size:           8
        .value_kind:     by_value
      - .address_space:  global
        .offset:         64
        .size:           8
        .value_kind:     global_buffer
      - .offset:         72
        .size:           8
        .value_kind:     by_value
      - .offset:         80
        .size:           8
        .value_kind:     by_value
      - .offset:         88
        .size:           8
        .value_kind:     by_value
      - .offset:         96
        .size:           4
        .value_kind:     by_value
      - .offset:         104
        .size:           4
        .value_kind:     hidden_block_count_x
      - .offset:         108
        .size:           4
        .value_kind:     hidden_block_count_y
      - .offset:         112
        .size:           4
        .value_kind:     hidden_block_count_z
      - .offset:         116
        .size:           2
        .value_kind:     hidden_group_size_x
      - .offset:         118
        .size:           2
        .value_kind:     hidden_group_size_y
      - .offset:         120
        .size:           2
        .value_kind:     hidden_group_size_z
      - .offset:         122
        .size:           2
        .value_kind:     hidden_remainder_x
      - .offset:         124
        .size:           2
        .value_kind:     hidden_remainder_y
      - .offset:         126
        .size:           2
        .value_kind:     hidden_remainder_z
      - .offset:         144
        .size:           8
        .value_kind:     hidden_global_offset_x
      - .offset:         152
        .size:           8
        .value_kind:     hidden_global_offset_y
      - .offset:         160
        .size:           8
        .value_kind:     hidden_global_offset_z
      - .offset:         168
        .size:           2
        .value_kind:     hidden_grid_dims
    .group_segment_fixed_size: 0
    .kernarg_segment_align: 8
    .kernarg_segment_size: 360
    .language:       OpenCL C
    .language_version:
      - 2
      - 0
    .max_flat_workgroup_size: 1024
    .name:           _ZL18rocblas_syr_kernelILb0ELi1024EdPKdS1_PdEvimT2_lT3_lllT4_llli
    .private_segment_fixed_size: 0
    .sgpr_count:     34
    .sgpr_spill_count: 0
    .symbol:         _ZL18rocblas_syr_kernelILb0ELi1024EdPKdS1_PdEvimT2_lT3_lllT4_llli.kd
    .uniform_work_group_size: 1
    .uses_dynamic_stack: false
    .vgpr_count:     14
    .vgpr_spill_count: 0
    .wavefront_size: 32
  - .args:
      - .offset:         0
        .size:           4
        .value_kind:     by_value
      - .offset:         8
        .size:           8
        .value_kind:     by_value
      - .offset:         16
        .size:           8
        .value_kind:     by_value
      - .offset:         24
        .size:           8
        .value_kind:     by_value
      - .address_space:  global
        .offset:         32
        .size:           8
        .value_kind:     global_buffer
      - .offset:         40
        .size:           8
        .value_kind:     by_value
      - .offset:         48
        .size:           8
        .value_kind:     by_value
      - .address_space:  global
        .offset:         56
        .size:           8
        .value_kind:     global_buffer
      - .offset:         64
        .size:           8
        .value_kind:     by_value
      - .offset:         72
        .size:           8
        .value_kind:     by_value
      - .offset:         80
        .size:           8
        .value_kind:     by_value
      - .offset:         88
        .size:           4
        .value_kind:     by_value
      - .offset:         96
        .size:           4
        .value_kind:     hidden_block_count_x
      - .offset:         100
        .size:           4
        .value_kind:     hidden_block_count_y
      - .offset:         104
        .size:           4
        .value_kind:     hidden_block_count_z
      - .offset:         108
        .size:           2
        .value_kind:     hidden_group_size_x
      - .offset:         110
        .size:           2
        .value_kind:     hidden_group_size_y
      - .offset:         112
        .size:           2
        .value_kind:     hidden_group_size_z
      - .offset:         114
        .size:           2
        .value_kind:     hidden_remainder_x
      - .offset:         116
        .size:           2
        .value_kind:     hidden_remainder_y
      - .offset:         118
        .size:           2
        .value_kind:     hidden_remainder_z
      - .offset:         136
        .size:           8
        .value_kind:     hidden_global_offset_x
      - .offset:         144
        .size:           8
        .value_kind:     hidden_global_offset_y
      - .offset:         152
        .size:           8
        .value_kind:     hidden_global_offset_z
      - .offset:         160
        .size:           2
        .value_kind:     hidden_grid_dims
    .group_segment_fixed_size: 0
    .kernarg_segment_align: 8
    .kernarg_segment_size: 352
    .language:       OpenCL C
    .language_version:
      - 2
      - 0
    .max_flat_workgroup_size: 1024
    .name:           _ZL23rocblas_syr_kernel_inc1ILb1ELi1024EddPKdPdEvimT2_lT3_llT4_llli
    .private_segment_fixed_size: 0
    .sgpr_count:     30
    .sgpr_spill_count: 0
    .symbol:         _ZL23rocblas_syr_kernel_inc1ILb1ELi1024EddPKdPdEvimT2_lT3_llT4_llli.kd
    .uniform_work_group_size: 1
    .uses_dynamic_stack: false
    .vgpr_count:     12
    .vgpr_spill_count: 0
    .wavefront_size: 32
  - .args:
      - .offset:         0
        .size:           4
        .value_kind:     by_value
      - .offset:         8
        .size:           8
        .value_kind:     by_value
      - .offset:         16
        .size:           8
        .value_kind:     by_value
      - .offset:         24
        .size:           8
        .value_kind:     by_value
      - .address_space:  global
        .offset:         32
        .size:           8
        .value_kind:     global_buffer
      - .offset:         40
        .size:           8
        .value_kind:     by_value
      - .offset:         48
        .size:           8
        .value_kind:     by_value
      - .offset:         56
        .size:           8
        .value_kind:     by_value
      - .address_space:  global
        .offset:         64
        .size:           8
        .value_kind:     global_buffer
      - .offset:         72
        .size:           8
        .value_kind:     by_value
      - .offset:         80
        .size:           8
        .value_kind:     by_value
      - .offset:         88
        .size:           8
        .value_kind:     by_value
      - .offset:         96
        .size:           4
        .value_kind:     by_value
      - .offset:         104
        .size:           4
        .value_kind:     hidden_block_count_x
      - .offset:         108
        .size:           4
        .value_kind:     hidden_block_count_y
      - .offset:         112
        .size:           4
        .value_kind:     hidden_block_count_z
      - .offset:         116
        .size:           2
        .value_kind:     hidden_group_size_x
      - .offset:         118
        .size:           2
        .value_kind:     hidden_group_size_y
      - .offset:         120
        .size:           2
        .value_kind:     hidden_group_size_z
      - .offset:         122
        .size:           2
        .value_kind:     hidden_remainder_x
      - .offset:         124
        .size:           2
        .value_kind:     hidden_remainder_y
      - .offset:         126
        .size:           2
        .value_kind:     hidden_remainder_z
      - .offset:         144
        .size:           8
        .value_kind:     hidden_global_offset_x
      - .offset:         152
        .size:           8
        .value_kind:     hidden_global_offset_y
      - .offset:         160
        .size:           8
        .value_kind:     hidden_global_offset_z
      - .offset:         168
        .size:           2
        .value_kind:     hidden_grid_dims
    .group_segment_fixed_size: 0
    .kernarg_segment_align: 8
    .kernarg_segment_size: 360
    .language:       OpenCL C
    .language_version:
      - 2
      - 0
    .max_flat_workgroup_size: 1024
    .name:           _ZL18rocblas_syr_kernelILb1ELi1024EddPKdPdEvimT2_lT3_lllT4_llli
    .private_segment_fixed_size: 0
    .sgpr_count:     33
    .sgpr_spill_count: 0
    .symbol:         _ZL18rocblas_syr_kernelILb1ELi1024EddPKdPdEvimT2_lT3_lllT4_llli.kd
    .uniform_work_group_size: 1
    .uses_dynamic_stack: false
    .vgpr_count:     12
    .vgpr_spill_count: 0
    .wavefront_size: 32
  - .args:
      - .offset:         0
        .size:           4
        .value_kind:     by_value
      - .offset:         8
        .size:           8
        .value_kind:     by_value
      - .offset:         16
        .size:           8
        .value_kind:     by_value
      - .offset:         24
        .size:           8
        .value_kind:     by_value
      - .address_space:  global
        .offset:         32
        .size:           8
        .value_kind:     global_buffer
      - .offset:         40
        .size:           8
        .value_kind:     by_value
      - .offset:         48
        .size:           8
        .value_kind:     by_value
      - .address_space:  global
        .offset:         56
        .size:           8
        .value_kind:     global_buffer
      - .offset:         64
        .size:           8
        .value_kind:     by_value
      - .offset:         72
        .size:           8
        .value_kind:     by_value
      - .offset:         80
        .size:           8
        .value_kind:     by_value
      - .offset:         88
        .size:           4
        .value_kind:     by_value
      - .offset:         96
        .size:           4
        .value_kind:     hidden_block_count_x
      - .offset:         100
        .size:           4
        .value_kind:     hidden_block_count_y
      - .offset:         104
        .size:           4
        .value_kind:     hidden_block_count_z
      - .offset:         108
        .size:           2
        .value_kind:     hidden_group_size_x
      - .offset:         110
        .size:           2
        .value_kind:     hidden_group_size_y
      - .offset:         112
        .size:           2
        .value_kind:     hidden_group_size_z
      - .offset:         114
        .size:           2
        .value_kind:     hidden_remainder_x
      - .offset:         116
        .size:           2
        .value_kind:     hidden_remainder_y
      - .offset:         118
        .size:           2
        .value_kind:     hidden_remainder_z
      - .offset:         136
        .size:           8
        .value_kind:     hidden_global_offset_x
      - .offset:         144
        .size:           8
        .value_kind:     hidden_global_offset_y
      - .offset:         152
        .size:           8
        .value_kind:     hidden_global_offset_z
      - .offset:         160
        .size:           2
        .value_kind:     hidden_grid_dims
    .group_segment_fixed_size: 0
    .kernarg_segment_align: 8
    .kernarg_segment_size: 352
    .language:       OpenCL C
    .language_version:
      - 2
      - 0
    .max_flat_workgroup_size: 1024
    .name:           _ZL23rocblas_syr_kernel_inc1ILb0ELi1024EddPKdPdEvimT2_lT3_llT4_llli
    .private_segment_fixed_size: 0
    .sgpr_count:     32
    .sgpr_spill_count: 0
    .symbol:         _ZL23rocblas_syr_kernel_inc1ILb0ELi1024EddPKdPdEvimT2_lT3_llT4_llli.kd
    .uniform_work_group_size: 1
    .uses_dynamic_stack: false
    .vgpr_count:     12
    .vgpr_spill_count: 0
    .wavefront_size: 32
  - .args:
      - .offset:         0
        .size:           4
        .value_kind:     by_value
      - .offset:         8
        .size:           8
        .value_kind:     by_value
      - .offset:         16
        .size:           8
        .value_kind:     by_value
      - .offset:         24
        .size:           8
        .value_kind:     by_value
      - .address_space:  global
        .offset:         32
        .size:           8
        .value_kind:     global_buffer
      - .offset:         40
        .size:           8
        .value_kind:     by_value
      - .offset:         48
        .size:           8
        .value_kind:     by_value
      - .offset:         56
        .size:           8
        .value_kind:     by_value
      - .address_space:  global
        .offset:         64
        .size:           8
        .value_kind:     global_buffer
      - .offset:         72
        .size:           8
        .value_kind:     by_value
      - .offset:         80
        .size:           8
        .value_kind:     by_value
      - .offset:         88
        .size:           8
        .value_kind:     by_value
      - .offset:         96
        .size:           4
        .value_kind:     by_value
      - .offset:         104
        .size:           4
        .value_kind:     hidden_block_count_x
      - .offset:         108
        .size:           4
        .value_kind:     hidden_block_count_y
      - .offset:         112
        .size:           4
        .value_kind:     hidden_block_count_z
      - .offset:         116
        .size:           2
        .value_kind:     hidden_group_size_x
      - .offset:         118
        .size:           2
        .value_kind:     hidden_group_size_y
      - .offset:         120
        .size:           2
        .value_kind:     hidden_group_size_z
      - .offset:         122
        .size:           2
        .value_kind:     hidden_remainder_x
      - .offset:         124
        .size:           2
        .value_kind:     hidden_remainder_y
      - .offset:         126
        .size:           2
        .value_kind:     hidden_remainder_z
      - .offset:         144
        .size:           8
        .value_kind:     hidden_global_offset_x
      - .offset:         152
        .size:           8
        .value_kind:     hidden_global_offset_y
      - .offset:         160
        .size:           8
        .value_kind:     hidden_global_offset_z
      - .offset:         168
        .size:           2
        .value_kind:     hidden_grid_dims
    .group_segment_fixed_size: 0
    .kernarg_segment_align: 8
    .kernarg_segment_size: 360
    .language:       OpenCL C
    .language_version:
      - 2
      - 0
    .max_flat_workgroup_size: 1024
    .name:           _ZL18rocblas_syr_kernelILb0ELi1024EddPKdPdEvimT2_lT3_lllT4_llli
    .private_segment_fixed_size: 0
    .sgpr_count:     34
    .sgpr_spill_count: 0
    .symbol:         _ZL18rocblas_syr_kernelILb0ELi1024EddPKdPdEvimT2_lT3_lllT4_llli.kd
    .uniform_work_group_size: 1
    .uses_dynamic_stack: false
    .vgpr_count:     12
    .vgpr_spill_count: 0
    .wavefront_size: 32
  - .args:
      - .offset:         0
        .size:           4
        .value_kind:     by_value
      - .offset:         8
        .size:           8
        .value_kind:     by_value
      - .address_space:  global
        .offset:         16
        .size:           8
        .value_kind:     global_buffer
      - .offset:         24
        .size:           8
        .value_kind:     by_value
      - .address_space:  global
        .offset:         32
        .size:           8
        .value_kind:     global_buffer
      - .offset:         40
        .size:           8
        .value_kind:     by_value
      - .offset:         48
        .size:           8
        .value_kind:     by_value
      - .address_space:  global
        .offset:         56
        .size:           8
        .value_kind:     global_buffer
      - .offset:         64
        .size:           8
        .value_kind:     by_value
      - .offset:         72
        .size:           8
        .value_kind:     by_value
      - .offset:         80
        .size:           8
        .value_kind:     by_value
      - .offset:         88
        .size:           4
        .value_kind:     by_value
      - .offset:         96
        .size:           4
        .value_kind:     hidden_block_count_x
      - .offset:         100
        .size:           4
        .value_kind:     hidden_block_count_y
      - .offset:         104
        .size:           4
        .value_kind:     hidden_block_count_z
      - .offset:         108
        .size:           2
        .value_kind:     hidden_group_size_x
      - .offset:         110
        .size:           2
        .value_kind:     hidden_group_size_y
      - .offset:         112
        .size:           2
        .value_kind:     hidden_group_size_z
      - .offset:         114
        .size:           2
        .value_kind:     hidden_remainder_x
      - .offset:         116
        .size:           2
        .value_kind:     hidden_remainder_y
      - .offset:         118
        .size:           2
        .value_kind:     hidden_remainder_z
      - .offset:         136
        .size:           8
        .value_kind:     hidden_global_offset_x
      - .offset:         144
        .size:           8
        .value_kind:     hidden_global_offset_y
      - .offset:         152
        .size:           8
        .value_kind:     hidden_global_offset_z
      - .offset:         160
        .size:           2
        .value_kind:     hidden_grid_dims
    .group_segment_fixed_size: 0
    .kernarg_segment_align: 8
    .kernarg_segment_size: 352
    .language:       OpenCL C
    .language_version:
      - 2
      - 0
    .max_flat_workgroup_size: 1024
    .name:           _ZL23rocblas_syr_kernel_inc1ILb1ELi1024E19rocblas_complex_numIfEPKS1_S3_PS1_EvimT2_lT3_llT4_llli
    .private_segment_fixed_size: 0
    .sgpr_count:     31
    .sgpr_spill_count: 0
    .symbol:         _ZL23rocblas_syr_kernel_inc1ILb1ELi1024E19rocblas_complex_numIfEPKS1_S3_PS1_EvimT2_lT3_llT4_llli.kd
    .uniform_work_group_size: 1
    .uses_dynamic_stack: false
    .vgpr_count:     14
    .vgpr_spill_count: 0
    .wavefront_size: 32
  - .args:
      - .offset:         0
        .size:           4
        .value_kind:     by_value
      - .offset:         8
        .size:           8
        .value_kind:     by_value
      - .address_space:  global
        .offset:         16
        .size:           8
        .value_kind:     global_buffer
      - .offset:         24
        .size:           8
        .value_kind:     by_value
      - .address_space:  global
        .offset:         32
        .size:           8
        .value_kind:     global_buffer
      - .offset:         40
        .size:           8
        .value_kind:     by_value
      - .offset:         48
        .size:           8
        .value_kind:     by_value
      - .offset:         56
        .size:           8
        .value_kind:     by_value
      - .address_space:  global
        .offset:         64
        .size:           8
        .value_kind:     global_buffer
      - .offset:         72
        .size:           8
        .value_kind:     by_value
      - .offset:         80
        .size:           8
        .value_kind:     by_value
      - .offset:         88
        .size:           8
        .value_kind:     by_value
      - .offset:         96
        .size:           4
        .value_kind:     by_value
      - .offset:         104
        .size:           4
        .value_kind:     hidden_block_count_x
      - .offset:         108
        .size:           4
        .value_kind:     hidden_block_count_y
      - .offset:         112
        .size:           4
        .value_kind:     hidden_block_count_z
      - .offset:         116
        .size:           2
        .value_kind:     hidden_group_size_x
      - .offset:         118
        .size:           2
        .value_kind:     hidden_group_size_y
      - .offset:         120
        .size:           2
        .value_kind:     hidden_group_size_z
      - .offset:         122
        .size:           2
        .value_kind:     hidden_remainder_x
      - .offset:         124
        .size:           2
        .value_kind:     hidden_remainder_y
      - .offset:         126
        .size:           2
        .value_kind:     hidden_remainder_z
      - .offset:         144
        .size:           8
        .value_kind:     hidden_global_offset_x
      - .offset:         152
        .size:           8
        .value_kind:     hidden_global_offset_y
      - .offset:         160
        .size:           8
        .value_kind:     hidden_global_offset_z
      - .offset:         168
        .size:           2
        .value_kind:     hidden_grid_dims
    .group_segment_fixed_size: 0
    .kernarg_segment_align: 8
    .kernarg_segment_size: 360
    .language:       OpenCL C
    .language_version:
      - 2
      - 0
    .max_flat_workgroup_size: 1024
    .name:           _ZL18rocblas_syr_kernelILb1ELi1024E19rocblas_complex_numIfEPKS1_S3_PS1_EvimT2_lT3_lllT4_llli
    .private_segment_fixed_size: 0
    .sgpr_count:     33
    .sgpr_spill_count: 0
    .symbol:         _ZL18rocblas_syr_kernelILb1ELi1024E19rocblas_complex_numIfEPKS1_S3_PS1_EvimT2_lT3_lllT4_llli.kd
    .uniform_work_group_size: 1
    .uses_dynamic_stack: false
    .vgpr_count:     14
    .vgpr_spill_count: 0
    .wavefront_size: 32
  - .args:
      - .offset:         0
        .size:           4
        .value_kind:     by_value
      - .offset:         8
        .size:           8
        .value_kind:     by_value
      - .address_space:  global
        .offset:         16
        .size:           8
        .value_kind:     global_buffer
      - .offset:         24
        .size:           8
        .value_kind:     by_value
      - .address_space:  global
        .offset:         32
        .size:           8
        .value_kind:     global_buffer
      - .offset:         40
        .size:           8
        .value_kind:     by_value
      - .offset:         48
        .size:           8
        .value_kind:     by_value
      - .address_space:  global
        .offset:         56
        .size:           8
        .value_kind:     global_buffer
      - .offset:         64
        .size:           8
        .value_kind:     by_value
      - .offset:         72
        .size:           8
        .value_kind:     by_value
      - .offset:         80
        .size:           8
        .value_kind:     by_value
      - .offset:         88
        .size:           4
        .value_kind:     by_value
      - .offset:         96
        .size:           4
        .value_kind:     hidden_block_count_x
      - .offset:         100
        .size:           4
        .value_kind:     hidden_block_count_y
      - .offset:         104
        .size:           4
        .value_kind:     hidden_block_count_z
      - .offset:         108
        .size:           2
        .value_kind:     hidden_group_size_x
      - .offset:         110
        .size:           2
        .value_kind:     hidden_group_size_y
      - .offset:         112
        .size:           2
        .value_kind:     hidden_group_size_z
      - .offset:         114
        .size:           2
        .value_kind:     hidden_remainder_x
      - .offset:         116
        .size:           2
        .value_kind:     hidden_remainder_y
      - .offset:         118
        .size:           2
        .value_kind:     hidden_remainder_z
      - .offset:         136
        .size:           8
        .value_kind:     hidden_global_offset_x
      - .offset:         144
        .size:           8
        .value_kind:     hidden_global_offset_y
      - .offset:         152
        .size:           8
        .value_kind:     hidden_global_offset_z
      - .offset:         160
        .size:           2
        .value_kind:     hidden_grid_dims
    .group_segment_fixed_size: 0
    .kernarg_segment_align: 8
    .kernarg_segment_size: 352
    .language:       OpenCL C
    .language_version:
      - 2
      - 0
    .max_flat_workgroup_size: 1024
    .name:           _ZL23rocblas_syr_kernel_inc1ILb0ELi1024E19rocblas_complex_numIfEPKS1_S3_PS1_EvimT2_lT3_llT4_llli
    .private_segment_fixed_size: 0
    .sgpr_count:     33
    .sgpr_spill_count: 0
    .symbol:         _ZL23rocblas_syr_kernel_inc1ILb0ELi1024E19rocblas_complex_numIfEPKS1_S3_PS1_EvimT2_lT3_llT4_llli.kd
    .uniform_work_group_size: 1
    .uses_dynamic_stack: false
    .vgpr_count:     14
    .vgpr_spill_count: 0
    .wavefront_size: 32
  - .args:
      - .offset:         0
        .size:           4
        .value_kind:     by_value
      - .offset:         8
        .size:           8
        .value_kind:     by_value
      - .address_space:  global
        .offset:         16
        .size:           8
        .value_kind:     global_buffer
      - .offset:         24
        .size:           8
        .value_kind:     by_value
      - .address_space:  global
        .offset:         32
        .size:           8
        .value_kind:     global_buffer
      - .offset:         40
        .size:           8
        .value_kind:     by_value
      - .offset:         48
        .size:           8
        .value_kind:     by_value
      - .offset:         56
        .size:           8
        .value_kind:     by_value
      - .address_space:  global
        .offset:         64
        .size:           8
        .value_kind:     global_buffer
      - .offset:         72
        .size:           8
        .value_kind:     by_value
      - .offset:         80
        .size:           8
        .value_kind:     by_value
      - .offset:         88
        .size:           8
        .value_kind:     by_value
      - .offset:         96
        .size:           4
        .value_kind:     by_value
      - .offset:         104
        .size:           4
        .value_kind:     hidden_block_count_x
      - .offset:         108
        .size:           4
        .value_kind:     hidden_block_count_y
      - .offset:         112
        .size:           4
        .value_kind:     hidden_block_count_z
      - .offset:         116
        .size:           2
        .value_kind:     hidden_group_size_x
      - .offset:         118
        .size:           2
        .value_kind:     hidden_group_size_y
      - .offset:         120
        .size:           2
        .value_kind:     hidden_group_size_z
      - .offset:         122
        .size:           2
        .value_kind:     hidden_remainder_x
      - .offset:         124
        .size:           2
        .value_kind:     hidden_remainder_y
      - .offset:         126
        .size:           2
        .value_kind:     hidden_remainder_z
      - .offset:         144
        .size:           8
        .value_kind:     hidden_global_offset_x
      - .offset:         152
        .size:           8
        .value_kind:     hidden_global_offset_y
      - .offset:         160
        .size:           8
        .value_kind:     hidden_global_offset_z
      - .offset:         168
        .size:           2
        .value_kind:     hidden_grid_dims
    .group_segment_fixed_size: 0
    .kernarg_segment_align: 8
    .kernarg_segment_size: 360
    .language:       OpenCL C
    .language_version:
      - 2
      - 0
    .max_flat_workgroup_size: 1024
    .name:           _ZL18rocblas_syr_kernelILb0ELi1024E19rocblas_complex_numIfEPKS1_S3_PS1_EvimT2_lT3_lllT4_llli
    .private_segment_fixed_size: 0
    .sgpr_count:     34
    .sgpr_spill_count: 0
    .symbol:         _ZL18rocblas_syr_kernelILb0ELi1024E19rocblas_complex_numIfEPKS1_S3_PS1_EvimT2_lT3_lllT4_llli.kd
    .uniform_work_group_size: 1
    .uses_dynamic_stack: false
    .vgpr_count:     14
    .vgpr_spill_count: 0
    .wavefront_size: 32
  - .args:
      - .offset:         0
        .size:           4
        .value_kind:     by_value
      - .offset:         8
        .size:           8
        .value_kind:     by_value
      - .offset:         16
        .size:           8
        .value_kind:     by_value
      - .offset:         24
        .size:           8
        .value_kind:     by_value
      - .address_space:  global
        .offset:         32
        .size:           8
        .value_kind:     global_buffer
      - .offset:         40
        .size:           8
        .value_kind:     by_value
      - .offset:         48
        .size:           8
        .value_kind:     by_value
      - .address_space:  global
        .offset:         56
        .size:           8
        .value_kind:     global_buffer
      - .offset:         64
        .size:           8
        .value_kind:     by_value
      - .offset:         72
        .size:           8
        .value_kind:     by_value
      - .offset:         80
        .size:           8
        .value_kind:     by_value
      - .offset:         88
        .size:           4
        .value_kind:     by_value
      - .offset:         96
        .size:           4
        .value_kind:     hidden_block_count_x
      - .offset:         100
        .size:           4
        .value_kind:     hidden_block_count_y
      - .offset:         104
        .size:           4
        .value_kind:     hidden_block_count_z
      - .offset:         108
        .size:           2
        .value_kind:     hidden_group_size_x
      - .offset:         110
        .size:           2
        .value_kind:     hidden_group_size_y
      - .offset:         112
        .size:           2
        .value_kind:     hidden_group_size_z
      - .offset:         114
        .size:           2
        .value_kind:     hidden_remainder_x
      - .offset:         116
        .size:           2
        .value_kind:     hidden_remainder_y
      - .offset:         118
        .size:           2
        .value_kind:     hidden_remainder_z
      - .offset:         136
        .size:           8
        .value_kind:     hidden_global_offset_x
      - .offset:         144
        .size:           8
        .value_kind:     hidden_global_offset_y
      - .offset:         152
        .size:           8
        .value_kind:     hidden_global_offset_z
      - .offset:         160
        .size:           2
        .value_kind:     hidden_grid_dims
    .group_segment_fixed_size: 0
    .kernarg_segment_align: 8
    .kernarg_segment_size: 352
    .language:       OpenCL C
    .language_version:
      - 2
      - 0
    .max_flat_workgroup_size: 1024
    .name:           _ZL23rocblas_syr_kernel_inc1ILb1ELi1024E19rocblas_complex_numIfES1_PKS1_PS1_EvimT2_lT3_llT4_llli
    .private_segment_fixed_size: 0
    .sgpr_count:     32
    .sgpr_spill_count: 0
    .symbol:         _ZL23rocblas_syr_kernel_inc1ILb1ELi1024E19rocblas_complex_numIfES1_PKS1_PS1_EvimT2_lT3_llT4_llli.kd
    .uniform_work_group_size: 1
    .uses_dynamic_stack: false
    .vgpr_count:     14
    .vgpr_spill_count: 0
    .wavefront_size: 32
  - .args:
      - .offset:         0
        .size:           4
        .value_kind:     by_value
      - .offset:         8
        .size:           8
        .value_kind:     by_value
      - .offset:         16
        .size:           8
        .value_kind:     by_value
      - .offset:         24
        .size:           8
        .value_kind:     by_value
      - .address_space:  global
        .offset:         32
        .size:           8
        .value_kind:     global_buffer
      - .offset:         40
        .size:           8
        .value_kind:     by_value
      - .offset:         48
        .size:           8
        .value_kind:     by_value
      - .offset:         56
        .size:           8
        .value_kind:     by_value
      - .address_space:  global
        .offset:         64
        .size:           8
        .value_kind:     global_buffer
      - .offset:         72
        .size:           8
        .value_kind:     by_value
      - .offset:         80
        .size:           8
        .value_kind:     by_value
      - .offset:         88
        .size:           8
        .value_kind:     by_value
      - .offset:         96
        .size:           4
        .value_kind:     by_value
      - .offset:         104
        .size:           4
        .value_kind:     hidden_block_count_x
      - .offset:         108
        .size:           4
        .value_kind:     hidden_block_count_y
      - .offset:         112
        .size:           4
        .value_kind:     hidden_block_count_z
      - .offset:         116
        .size:           2
        .value_kind:     hidden_group_size_x
      - .offset:         118
        .size:           2
        .value_kind:     hidden_group_size_y
      - .offset:         120
        .size:           2
        .value_kind:     hidden_group_size_z
      - .offset:         122
        .size:           2
        .value_kind:     hidden_remainder_x
      - .offset:         124
        .size:           2
        .value_kind:     hidden_remainder_y
      - .offset:         126
        .size:           2
        .value_kind:     hidden_remainder_z
      - .offset:         144
        .size:           8
        .value_kind:     hidden_global_offset_x
      - .offset:         152
        .size:           8
        .value_kind:     hidden_global_offset_y
      - .offset:         160
        .size:           8
        .value_kind:     hidden_global_offset_z
      - .offset:         168
        .size:           2
        .value_kind:     hidden_grid_dims
    .group_segment_fixed_size: 0
    .kernarg_segment_align: 8
    .kernarg_segment_size: 360
    .language:       OpenCL C
    .language_version:
      - 2
      - 0
    .max_flat_workgroup_size: 1024
    .name:           _ZL18rocblas_syr_kernelILb1ELi1024E19rocblas_complex_numIfES1_PKS1_PS1_EvimT2_lT3_lllT4_llli
    .private_segment_fixed_size: 0
    .sgpr_count:     32
    .sgpr_spill_count: 0
    .symbol:         _ZL18rocblas_syr_kernelILb1ELi1024E19rocblas_complex_numIfES1_PKS1_PS1_EvimT2_lT3_lllT4_llli.kd
    .uniform_work_group_size: 1
    .uses_dynamic_stack: false
    .vgpr_count:     14
    .vgpr_spill_count: 0
    .wavefront_size: 32
  - .args:
      - .offset:         0
        .size:           4
        .value_kind:     by_value
      - .offset:         8
        .size:           8
        .value_kind:     by_value
      - .offset:         16
        .size:           8
        .value_kind:     by_value
      - .offset:         24
        .size:           8
        .value_kind:     by_value
      - .address_space:  global
        .offset:         32
        .size:           8
        .value_kind:     global_buffer
      - .offset:         40
        .size:           8
        .value_kind:     by_value
      - .offset:         48
        .size:           8
        .value_kind:     by_value
      - .address_space:  global
        .offset:         56
        .size:           8
        .value_kind:     global_buffer
      - .offset:         64
        .size:           8
        .value_kind:     by_value
      - .offset:         72
        .size:           8
        .value_kind:     by_value
      - .offset:         80
        .size:           8
        .value_kind:     by_value
      - .offset:         88
        .size:           4
        .value_kind:     by_value
      - .offset:         96
        .size:           4
        .value_kind:     hidden_block_count_x
      - .offset:         100
        .size:           4
        .value_kind:     hidden_block_count_y
      - .offset:         104
        .size:           4
        .value_kind:     hidden_block_count_z
      - .offset:         108
        .size:           2
        .value_kind:     hidden_group_size_x
      - .offset:         110
        .size:           2
        .value_kind:     hidden_group_size_y
      - .offset:         112
        .size:           2
        .value_kind:     hidden_group_size_z
      - .offset:         114
        .size:           2
        .value_kind:     hidden_remainder_x
      - .offset:         116
        .size:           2
        .value_kind:     hidden_remainder_y
      - .offset:         118
        .size:           2
        .value_kind:     hidden_remainder_z
      - .offset:         136
        .size:           8
        .value_kind:     hidden_global_offset_x
      - .offset:         144
        .size:           8
        .value_kind:     hidden_global_offset_y
      - .offset:         152
        .size:           8
        .value_kind:     hidden_global_offset_z
      - .offset:         160
        .size:           2
        .value_kind:     hidden_grid_dims
    .group_segment_fixed_size: 0
    .kernarg_segment_align: 8
    .kernarg_segment_size: 352
    .language:       OpenCL C
    .language_version:
      - 2
      - 0
    .max_flat_workgroup_size: 1024
    .name:           _ZL23rocblas_syr_kernel_inc1ILb0ELi1024E19rocblas_complex_numIfES1_PKS1_PS1_EvimT2_lT3_llT4_llli
    .private_segment_fixed_size: 0
    .sgpr_count:     32
    .sgpr_spill_count: 0
    .symbol:         _ZL23rocblas_syr_kernel_inc1ILb0ELi1024E19rocblas_complex_numIfES1_PKS1_PS1_EvimT2_lT3_llT4_llli.kd
    .uniform_work_group_size: 1
    .uses_dynamic_stack: false
    .vgpr_count:     14
    .vgpr_spill_count: 0
    .wavefront_size: 32
  - .args:
      - .offset:         0
        .size:           4
        .value_kind:     by_value
      - .offset:         8
        .size:           8
        .value_kind:     by_value
      - .offset:         16
        .size:           8
        .value_kind:     by_value
      - .offset:         24
        .size:           8
        .value_kind:     by_value
      - .address_space:  global
        .offset:         32
        .size:           8
        .value_kind:     global_buffer
      - .offset:         40
        .size:           8
        .value_kind:     by_value
      - .offset:         48
        .size:           8
        .value_kind:     by_value
      - .offset:         56
        .size:           8
        .value_kind:     by_value
      - .address_space:  global
        .offset:         64
        .size:           8
        .value_kind:     global_buffer
      - .offset:         72
        .size:           8
        .value_kind:     by_value
      - .offset:         80
        .size:           8
        .value_kind:     by_value
      - .offset:         88
        .size:           8
        .value_kind:     by_value
      - .offset:         96
        .size:           4
        .value_kind:     by_value
      - .offset:         104
        .size:           4
        .value_kind:     hidden_block_count_x
      - .offset:         108
        .size:           4
        .value_kind:     hidden_block_count_y
      - .offset:         112
        .size:           4
        .value_kind:     hidden_block_count_z
      - .offset:         116
        .size:           2
        .value_kind:     hidden_group_size_x
      - .offset:         118
        .size:           2
        .value_kind:     hidden_group_size_y
      - .offset:         120
        .size:           2
        .value_kind:     hidden_group_size_z
      - .offset:         122
        .size:           2
        .value_kind:     hidden_remainder_x
      - .offset:         124
        .size:           2
        .value_kind:     hidden_remainder_y
      - .offset:         126
        .size:           2
        .value_kind:     hidden_remainder_z
      - .offset:         144
        .size:           8
        .value_kind:     hidden_global_offset_x
      - .offset:         152
        .size:           8
        .value_kind:     hidden_global_offset_y
      - .offset:         160
        .size:           8
        .value_kind:     hidden_global_offset_z
      - .offset:         168
        .size:           2
        .value_kind:     hidden_grid_dims
    .group_segment_fixed_size: 0
    .kernarg_segment_align: 8
    .kernarg_segment_size: 360
    .language:       OpenCL C
    .language_version:
      - 2
      - 0
    .max_flat_workgroup_size: 1024
    .name:           _ZL18rocblas_syr_kernelILb0ELi1024E19rocblas_complex_numIfES1_PKS1_PS1_EvimT2_lT3_lllT4_llli
    .private_segment_fixed_size: 0
    .sgpr_count:     33
    .sgpr_spill_count: 0
    .symbol:         _ZL18rocblas_syr_kernelILb0ELi1024E19rocblas_complex_numIfES1_PKS1_PS1_EvimT2_lT3_lllT4_llli.kd
    .uniform_work_group_size: 1
    .uses_dynamic_stack: false
    .vgpr_count:     14
    .vgpr_spill_count: 0
    .wavefront_size: 32
  - .args:
      - .offset:         0
        .size:           4
        .value_kind:     by_value
      - .offset:         8
        .size:           8
        .value_kind:     by_value
      - .address_space:  global
        .offset:         16
        .size:           8
        .value_kind:     global_buffer
      - .offset:         24
        .size:           8
        .value_kind:     by_value
      - .address_space:  global
        .offset:         32
        .size:           8
        .value_kind:     global_buffer
      - .offset:         40
        .size:           8
        .value_kind:     by_value
      - .offset:         48
        .size:           8
        .value_kind:     by_value
      - .address_space:  global
        .offset:         56
        .size:           8
        .value_kind:     global_buffer
      - .offset:         64
        .size:           8
        .value_kind:     by_value
      - .offset:         72
        .size:           8
        .value_kind:     by_value
      - .offset:         80
        .size:           8
        .value_kind:     by_value
      - .offset:         88
        .size:           4
        .value_kind:     by_value
      - .offset:         96
        .size:           4
        .value_kind:     hidden_block_count_x
      - .offset:         100
        .size:           4
        .value_kind:     hidden_block_count_y
      - .offset:         104
        .size:           4
        .value_kind:     hidden_block_count_z
      - .offset:         108
        .size:           2
        .value_kind:     hidden_group_size_x
      - .offset:         110
        .size:           2
        .value_kind:     hidden_group_size_y
      - .offset:         112
        .size:           2
        .value_kind:     hidden_group_size_z
      - .offset:         114
        .size:           2
        .value_kind:     hidden_remainder_x
      - .offset:         116
        .size:           2
        .value_kind:     hidden_remainder_y
      - .offset:         118
        .size:           2
        .value_kind:     hidden_remainder_z
      - .offset:         136
        .size:           8
        .value_kind:     hidden_global_offset_x
      - .offset:         144
        .size:           8
        .value_kind:     hidden_global_offset_y
      - .offset:         152
        .size:           8
        .value_kind:     hidden_global_offset_z
      - .offset:         160
        .size:           2
        .value_kind:     hidden_grid_dims
    .group_segment_fixed_size: 0
    .kernarg_segment_align: 8
    .kernarg_segment_size: 352
    .language:       OpenCL C
    .language_version:
      - 2
      - 0
    .max_flat_workgroup_size: 1024
    .name:           _ZL23rocblas_syr_kernel_inc1ILb1ELi1024E19rocblas_complex_numIdEPKS1_S3_PS1_EvimT2_lT3_llT4_llli
    .private_segment_fixed_size: 0
    .sgpr_count:     31
    .sgpr_spill_count: 0
    .symbol:         _ZL23rocblas_syr_kernel_inc1ILb1ELi1024E19rocblas_complex_numIdEPKS1_S3_PS1_EvimT2_lT3_llT4_llli.kd
    .uniform_work_group_size: 1
    .uses_dynamic_stack: false
    .vgpr_count:     22
    .vgpr_spill_count: 0
    .wavefront_size: 32
  - .args:
      - .offset:         0
        .size:           4
        .value_kind:     by_value
      - .offset:         8
        .size:           8
        .value_kind:     by_value
      - .address_space:  global
        .offset:         16
        .size:           8
        .value_kind:     global_buffer
      - .offset:         24
        .size:           8
        .value_kind:     by_value
      - .address_space:  global
        .offset:         32
        .size:           8
        .value_kind:     global_buffer
      - .offset:         40
        .size:           8
        .value_kind:     by_value
      - .offset:         48
        .size:           8
        .value_kind:     by_value
      - .offset:         56
        .size:           8
        .value_kind:     by_value
      - .address_space:  global
        .offset:         64
        .size:           8
        .value_kind:     global_buffer
      - .offset:         72
        .size:           8
        .value_kind:     by_value
      - .offset:         80
        .size:           8
        .value_kind:     by_value
      - .offset:         88
        .size:           8
        .value_kind:     by_value
      - .offset:         96
        .size:           4
        .value_kind:     by_value
      - .offset:         104
        .size:           4
        .value_kind:     hidden_block_count_x
      - .offset:         108
        .size:           4
        .value_kind:     hidden_block_count_y
      - .offset:         112
        .size:           4
        .value_kind:     hidden_block_count_z
      - .offset:         116
        .size:           2
        .value_kind:     hidden_group_size_x
      - .offset:         118
        .size:           2
        .value_kind:     hidden_group_size_y
      - .offset:         120
        .size:           2
        .value_kind:     hidden_group_size_z
      - .offset:         122
        .size:           2
        .value_kind:     hidden_remainder_x
      - .offset:         124
        .size:           2
        .value_kind:     hidden_remainder_y
      - .offset:         126
        .size:           2
        .value_kind:     hidden_remainder_z
      - .offset:         144
        .size:           8
        .value_kind:     hidden_global_offset_x
      - .offset:         152
        .size:           8
        .value_kind:     hidden_global_offset_y
      - .offset:         160
        .size:           8
        .value_kind:     hidden_global_offset_z
      - .offset:         168
        .size:           2
        .value_kind:     hidden_grid_dims
    .group_segment_fixed_size: 0
    .kernarg_segment_align: 8
    .kernarg_segment_size: 360
    .language:       OpenCL C
    .language_version:
      - 2
      - 0
    .max_flat_workgroup_size: 1024
    .name:           _ZL18rocblas_syr_kernelILb1ELi1024E19rocblas_complex_numIdEPKS1_S3_PS1_EvimT2_lT3_lllT4_llli
    .private_segment_fixed_size: 0
    .sgpr_count:     33
    .sgpr_spill_count: 0
    .symbol:         _ZL18rocblas_syr_kernelILb1ELi1024E19rocblas_complex_numIdEPKS1_S3_PS1_EvimT2_lT3_lllT4_llli.kd
    .uniform_work_group_size: 1
    .uses_dynamic_stack: false
    .vgpr_count:     22
    .vgpr_spill_count: 0
    .wavefront_size: 32
  - .args:
      - .offset:         0
        .size:           4
        .value_kind:     by_value
      - .offset:         8
        .size:           8
        .value_kind:     by_value
      - .address_space:  global
        .offset:         16
        .size:           8
        .value_kind:     global_buffer
      - .offset:         24
        .size:           8
        .value_kind:     by_value
      - .address_space:  global
        .offset:         32
        .size:           8
        .value_kind:     global_buffer
      - .offset:         40
        .size:           8
        .value_kind:     by_value
      - .offset:         48
        .size:           8
        .value_kind:     by_value
      - .address_space:  global
        .offset:         56
        .size:           8
        .value_kind:     global_buffer
      - .offset:         64
        .size:           8
        .value_kind:     by_value
      - .offset:         72
        .size:           8
        .value_kind:     by_value
      - .offset:         80
        .size:           8
        .value_kind:     by_value
      - .offset:         88
        .size:           4
        .value_kind:     by_value
      - .offset:         96
        .size:           4
        .value_kind:     hidden_block_count_x
      - .offset:         100
        .size:           4
        .value_kind:     hidden_block_count_y
      - .offset:         104
        .size:           4
        .value_kind:     hidden_block_count_z
      - .offset:         108
        .size:           2
        .value_kind:     hidden_group_size_x
      - .offset:         110
        .size:           2
        .value_kind:     hidden_group_size_y
      - .offset:         112
        .size:           2
        .value_kind:     hidden_group_size_z
      - .offset:         114
        .size:           2
        .value_kind:     hidden_remainder_x
      - .offset:         116
        .size:           2
        .value_kind:     hidden_remainder_y
      - .offset:         118
        .size:           2
        .value_kind:     hidden_remainder_z
      - .offset:         136
        .size:           8
        .value_kind:     hidden_global_offset_x
      - .offset:         144
        .size:           8
        .value_kind:     hidden_global_offset_y
      - .offset:         152
        .size:           8
        .value_kind:     hidden_global_offset_z
      - .offset:         160
        .size:           2
        .value_kind:     hidden_grid_dims
    .group_segment_fixed_size: 0
    .kernarg_segment_align: 8
    .kernarg_segment_size: 352
    .language:       OpenCL C
    .language_version:
      - 2
      - 0
    .max_flat_workgroup_size: 1024
    .name:           _ZL23rocblas_syr_kernel_inc1ILb0ELi1024E19rocblas_complex_numIdEPKS1_S3_PS1_EvimT2_lT3_llT4_llli
    .private_segment_fixed_size: 0
    .sgpr_count:     33
    .sgpr_spill_count: 0
    .symbol:         _ZL23rocblas_syr_kernel_inc1ILb0ELi1024E19rocblas_complex_numIdEPKS1_S3_PS1_EvimT2_lT3_llT4_llli.kd
    .uniform_work_group_size: 1
    .uses_dynamic_stack: false
    .vgpr_count:     22
    .vgpr_spill_count: 0
    .wavefront_size: 32
  - .args:
      - .offset:         0
        .size:           4
        .value_kind:     by_value
      - .offset:         8
        .size:           8
        .value_kind:     by_value
      - .address_space:  global
        .offset:         16
        .size:           8
        .value_kind:     global_buffer
      - .offset:         24
        .size:           8
        .value_kind:     by_value
      - .address_space:  global
        .offset:         32
        .size:           8
        .value_kind:     global_buffer
      - .offset:         40
        .size:           8
        .value_kind:     by_value
      - .offset:         48
        .size:           8
        .value_kind:     by_value
      - .offset:         56
        .size:           8
        .value_kind:     by_value
      - .address_space:  global
        .offset:         64
        .size:           8
        .value_kind:     global_buffer
      - .offset:         72
        .size:           8
        .value_kind:     by_value
      - .offset:         80
        .size:           8
        .value_kind:     by_value
      - .offset:         88
        .size:           8
        .value_kind:     by_value
      - .offset:         96
        .size:           4
        .value_kind:     by_value
      - .offset:         104
        .size:           4
        .value_kind:     hidden_block_count_x
      - .offset:         108
        .size:           4
        .value_kind:     hidden_block_count_y
      - .offset:         112
        .size:           4
        .value_kind:     hidden_block_count_z
      - .offset:         116
        .size:           2
        .value_kind:     hidden_group_size_x
      - .offset:         118
        .size:           2
        .value_kind:     hidden_group_size_y
      - .offset:         120
        .size:           2
        .value_kind:     hidden_group_size_z
      - .offset:         122
        .size:           2
        .value_kind:     hidden_remainder_x
      - .offset:         124
        .size:           2
        .value_kind:     hidden_remainder_y
      - .offset:         126
        .size:           2
        .value_kind:     hidden_remainder_z
      - .offset:         144
        .size:           8
        .value_kind:     hidden_global_offset_x
      - .offset:         152
        .size:           8
        .value_kind:     hidden_global_offset_y
      - .offset:         160
        .size:           8
        .value_kind:     hidden_global_offset_z
      - .offset:         168
        .size:           2
        .value_kind:     hidden_grid_dims
    .group_segment_fixed_size: 0
    .kernarg_segment_align: 8
    .kernarg_segment_size: 360
    .language:       OpenCL C
    .language_version:
      - 2
      - 0
    .max_flat_workgroup_size: 1024
    .name:           _ZL18rocblas_syr_kernelILb0ELi1024E19rocblas_complex_numIdEPKS1_S3_PS1_EvimT2_lT3_lllT4_llli
    .private_segment_fixed_size: 0
    .sgpr_count:     36
    .sgpr_spill_count: 0
    .symbol:         _ZL18rocblas_syr_kernelILb0ELi1024E19rocblas_complex_numIdEPKS1_S3_PS1_EvimT2_lT3_lllT4_llli.kd
    .uniform_work_group_size: 1
    .uses_dynamic_stack: false
    .vgpr_count:     22
    .vgpr_spill_count: 0
    .wavefront_size: 32
  - .args:
      - .offset:         0
        .size:           4
        .value_kind:     by_value
      - .offset:         8
        .size:           8
        .value_kind:     by_value
      - .offset:         16
        .size:           16
        .value_kind:     by_value
      - .offset:         32
        .size:           8
        .value_kind:     by_value
      - .address_space:  global
        .offset:         40
        .size:           8
        .value_kind:     global_buffer
      - .offset:         48
        .size:           8
        .value_kind:     by_value
      - .offset:         56
        .size:           8
        .value_kind:     by_value
      - .address_space:  global
        .offset:         64
        .size:           8
        .value_kind:     global_buffer
      - .offset:         72
        .size:           8
        .value_kind:     by_value
      - .offset:         80
        .size:           8
        .value_kind:     by_value
      - .offset:         88
        .size:           8
        .value_kind:     by_value
      - .offset:         96
        .size:           4
        .value_kind:     by_value
      - .offset:         104
        .size:           4
        .value_kind:     hidden_block_count_x
      - .offset:         108
        .size:           4
        .value_kind:     hidden_block_count_y
      - .offset:         112
        .size:           4
        .value_kind:     hidden_block_count_z
      - .offset:         116
        .size:           2
        .value_kind:     hidden_group_size_x
      - .offset:         118
        .size:           2
        .value_kind:     hidden_group_size_y
      - .offset:         120
        .size:           2
        .value_kind:     hidden_group_size_z
      - .offset:         122
        .size:           2
        .value_kind:     hidden_remainder_x
      - .offset:         124
        .size:           2
        .value_kind:     hidden_remainder_y
      - .offset:         126
        .size:           2
        .value_kind:     hidden_remainder_z
      - .offset:         144
        .size:           8
        .value_kind:     hidden_global_offset_x
      - .offset:         152
        .size:           8
        .value_kind:     hidden_global_offset_y
      - .offset:         160
        .size:           8
        .value_kind:     hidden_global_offset_z
      - .offset:         168
        .size:           2
        .value_kind:     hidden_grid_dims
    .group_segment_fixed_size: 0
    .kernarg_segment_align: 8
    .kernarg_segment_size: 360
    .language:       OpenCL C
    .language_version:
      - 2
      - 0
    .max_flat_workgroup_size: 1024
    .name:           _ZL23rocblas_syr_kernel_inc1ILb1ELi1024E19rocblas_complex_numIdES1_PKS1_PS1_EvimT2_lT3_llT4_llli
    .private_segment_fixed_size: 0
    .sgpr_count:     33
    .sgpr_spill_count: 0
    .symbol:         _ZL23rocblas_syr_kernel_inc1ILb1ELi1024E19rocblas_complex_numIdES1_PKS1_PS1_EvimT2_lT3_llT4_llli.kd
    .uniform_work_group_size: 1
    .uses_dynamic_stack: false
    .vgpr_count:     18
    .vgpr_spill_count: 0
    .wavefront_size: 32
  - .args:
      - .offset:         0
        .size:           4
        .value_kind:     by_value
      - .offset:         8
        .size:           8
        .value_kind:     by_value
      - .offset:         16
        .size:           16
        .value_kind:     by_value
      - .offset:         32
        .size:           8
        .value_kind:     by_value
      - .address_space:  global
        .offset:         40
        .size:           8
        .value_kind:     global_buffer
      - .offset:         48
        .size:           8
        .value_kind:     by_value
      - .offset:         56
        .size:           8
        .value_kind:     by_value
      - .offset:         64
        .size:           8
        .value_kind:     by_value
      - .address_space:  global
        .offset:         72
        .size:           8
        .value_kind:     global_buffer
      - .offset:         80
        .size:           8
        .value_kind:     by_value
      - .offset:         88
        .size:           8
        .value_kind:     by_value
      - .offset:         96
        .size:           8
        .value_kind:     by_value
      - .offset:         104
        .size:           4
        .value_kind:     by_value
      - .offset:         112
        .size:           4
        .value_kind:     hidden_block_count_x
      - .offset:         116
        .size:           4
        .value_kind:     hidden_block_count_y
      - .offset:         120
        .size:           4
        .value_kind:     hidden_block_count_z
      - .offset:         124
        .size:           2
        .value_kind:     hidden_group_size_x
      - .offset:         126
        .size:           2
        .value_kind:     hidden_group_size_y
      - .offset:         128
        .size:           2
        .value_kind:     hidden_group_size_z
      - .offset:         130
        .size:           2
        .value_kind:     hidden_remainder_x
      - .offset:         132
        .size:           2
        .value_kind:     hidden_remainder_y
      - .offset:         134
        .size:           2
        .value_kind:     hidden_remainder_z
      - .offset:         152
        .size:           8
        .value_kind:     hidden_global_offset_x
      - .offset:         160
        .size:           8
        .value_kind:     hidden_global_offset_y
      - .offset:         168
        .size:           8
        .value_kind:     hidden_global_offset_z
      - .offset:         176
        .size:           2
        .value_kind:     hidden_grid_dims
    .group_segment_fixed_size: 0
    .kernarg_segment_align: 8
    .kernarg_segment_size: 368
    .language:       OpenCL C
    .language_version:
      - 2
      - 0
    .max_flat_workgroup_size: 1024
    .name:           _ZL18rocblas_syr_kernelILb1ELi1024E19rocblas_complex_numIdES1_PKS1_PS1_EvimT2_lT3_lllT4_llli
    .private_segment_fixed_size: 0
    .sgpr_count:     36
    .sgpr_spill_count: 0
    .symbol:         _ZL18rocblas_syr_kernelILb1ELi1024E19rocblas_complex_numIdES1_PKS1_PS1_EvimT2_lT3_lllT4_llli.kd
    .uniform_work_group_size: 1
    .uses_dynamic_stack: false
    .vgpr_count:     18
    .vgpr_spill_count: 0
    .wavefront_size: 32
  - .args:
      - .offset:         0
        .size:           4
        .value_kind:     by_value
      - .offset:         8
        .size:           8
        .value_kind:     by_value
      - .offset:         16
        .size:           16
        .value_kind:     by_value
      - .offset:         32
        .size:           8
        .value_kind:     by_value
      - .address_space:  global
        .offset:         40
        .size:           8
        .value_kind:     global_buffer
      - .offset:         48
        .size:           8
        .value_kind:     by_value
      - .offset:         56
        .size:           8
        .value_kind:     by_value
      - .address_space:  global
        .offset:         64
        .size:           8
        .value_kind:     global_buffer
      - .offset:         72
        .size:           8
        .value_kind:     by_value
      - .offset:         80
        .size:           8
        .value_kind:     by_value
      - .offset:         88
        .size:           8
        .value_kind:     by_value
      - .offset:         96
        .size:           4
        .value_kind:     by_value
      - .offset:         104
        .size:           4
        .value_kind:     hidden_block_count_x
      - .offset:         108
        .size:           4
        .value_kind:     hidden_block_count_y
      - .offset:         112
        .size:           4
        .value_kind:     hidden_block_count_z
      - .offset:         116
        .size:           2
        .value_kind:     hidden_group_size_x
      - .offset:         118
        .size:           2
        .value_kind:     hidden_group_size_y
      - .offset:         120
        .size:           2
        .value_kind:     hidden_group_size_z
      - .offset:         122
        .size:           2
        .value_kind:     hidden_remainder_x
      - .offset:         124
        .size:           2
        .value_kind:     hidden_remainder_y
      - .offset:         126
        .size:           2
        .value_kind:     hidden_remainder_z
      - .offset:         144
        .size:           8
        .value_kind:     hidden_global_offset_x
      - .offset:         152
        .size:           8
        .value_kind:     hidden_global_offset_y
      - .offset:         160
        .size:           8
        .value_kind:     hidden_global_offset_z
      - .offset:         168
        .size:           2
        .value_kind:     hidden_grid_dims
    .group_segment_fixed_size: 0
    .kernarg_segment_align: 8
    .kernarg_segment_size: 360
    .language:       OpenCL C
    .language_version:
      - 2
      - 0
    .max_flat_workgroup_size: 1024
    .name:           _ZL23rocblas_syr_kernel_inc1ILb0ELi1024E19rocblas_complex_numIdES1_PKS1_PS1_EvimT2_lT3_llT4_llli
    .private_segment_fixed_size: 0
    .sgpr_count:     36
    .sgpr_spill_count: 0
    .symbol:         _ZL23rocblas_syr_kernel_inc1ILb0ELi1024E19rocblas_complex_numIdES1_PKS1_PS1_EvimT2_lT3_llT4_llli.kd
    .uniform_work_group_size: 1
    .uses_dynamic_stack: false
    .vgpr_count:     18
    .vgpr_spill_count: 0
    .wavefront_size: 32
  - .args:
      - .offset:         0
        .size:           4
        .value_kind:     by_value
      - .offset:         8
        .size:           8
        .value_kind:     by_value
      - .offset:         16
        .size:           16
        .value_kind:     by_value
      - .offset:         32
        .size:           8
        .value_kind:     by_value
      - .address_space:  global
        .offset:         40
        .size:           8
        .value_kind:     global_buffer
      - .offset:         48
        .size:           8
        .value_kind:     by_value
      - .offset:         56
        .size:           8
        .value_kind:     by_value
      - .offset:         64
        .size:           8
        .value_kind:     by_value
      - .address_space:  global
        .offset:         72
        .size:           8
        .value_kind:     global_buffer
      - .offset:         80
        .size:           8
        .value_kind:     by_value
      - .offset:         88
        .size:           8
        .value_kind:     by_value
      - .offset:         96
        .size:           8
        .value_kind:     by_value
      - .offset:         104
        .size:           4
        .value_kind:     by_value
      - .offset:         112
        .size:           4
        .value_kind:     hidden_block_count_x
      - .offset:         116
        .size:           4
        .value_kind:     hidden_block_count_y
      - .offset:         120
        .size:           4
        .value_kind:     hidden_block_count_z
      - .offset:         124
        .size:           2
        .value_kind:     hidden_group_size_x
      - .offset:         126
        .size:           2
        .value_kind:     hidden_group_size_y
      - .offset:         128
        .size:           2
        .value_kind:     hidden_group_size_z
      - .offset:         130
        .size:           2
        .value_kind:     hidden_remainder_x
      - .offset:         132
        .size:           2
        .value_kind:     hidden_remainder_y
      - .offset:         134
        .size:           2
        .value_kind:     hidden_remainder_z
      - .offset:         152
        .size:           8
        .value_kind:     hidden_global_offset_x
      - .offset:         160
        .size:           8
        .value_kind:     hidden_global_offset_y
      - .offset:         168
        .size:           8
        .value_kind:     hidden_global_offset_z
      - .offset:         176
        .size:           2
        .value_kind:     hidden_grid_dims
    .group_segment_fixed_size: 0
    .kernarg_segment_align: 8
    .kernarg_segment_size: 368
    .language:       OpenCL C
    .language_version:
      - 2
      - 0
    .max_flat_workgroup_size: 1024
    .name:           _ZL18rocblas_syr_kernelILb0ELi1024E19rocblas_complex_numIdES1_PKS1_PS1_EvimT2_lT3_lllT4_llli
    .private_segment_fixed_size: 0
    .sgpr_count:     37
    .sgpr_spill_count: 0
    .symbol:         _ZL18rocblas_syr_kernelILb0ELi1024E19rocblas_complex_numIdES1_PKS1_PS1_EvimT2_lT3_lllT4_llli.kd
    .uniform_work_group_size: 1
    .uses_dynamic_stack: false
    .vgpr_count:     18
    .vgpr_spill_count: 0
    .wavefront_size: 32
  - .args:
      - .offset:         0
        .size:           4
        .value_kind:     by_value
      - .offset:         8
        .size:           8
        .value_kind:     by_value
      - .address_space:  global
        .offset:         16
        .size:           8
        .value_kind:     global_buffer
      - .offset:         24
        .size:           8
        .value_kind:     by_value
      - .address_space:  global
        .offset:         32
        .size:           8
        .value_kind:     global_buffer
      - .offset:         40
        .size:           8
        .value_kind:     by_value
      - .offset:         48
        .size:           8
        .value_kind:     by_value
      - .address_space:  global
        .offset:         56
        .size:           8
        .value_kind:     global_buffer
      - .offset:         64
        .size:           8
        .value_kind:     by_value
      - .offset:         72
        .size:           8
        .value_kind:     by_value
      - .offset:         80
        .size:           8
        .value_kind:     by_value
      - .offset:         88
        .size:           4
        .value_kind:     by_value
      - .offset:         96
        .size:           4
        .value_kind:     hidden_block_count_x
      - .offset:         100
        .size:           4
        .value_kind:     hidden_block_count_y
      - .offset:         104
        .size:           4
        .value_kind:     hidden_block_count_z
      - .offset:         108
        .size:           2
        .value_kind:     hidden_group_size_x
      - .offset:         110
        .size:           2
        .value_kind:     hidden_group_size_y
      - .offset:         112
        .size:           2
        .value_kind:     hidden_group_size_z
      - .offset:         114
        .size:           2
        .value_kind:     hidden_remainder_x
      - .offset:         116
        .size:           2
        .value_kind:     hidden_remainder_y
      - .offset:         118
        .size:           2
        .value_kind:     hidden_remainder_z
      - .offset:         136
        .size:           8
        .value_kind:     hidden_global_offset_x
      - .offset:         144
        .size:           8
        .value_kind:     hidden_global_offset_y
      - .offset:         152
        .size:           8
        .value_kind:     hidden_global_offset_z
      - .offset:         160
        .size:           2
        .value_kind:     hidden_grid_dims
    .group_segment_fixed_size: 0
    .kernarg_segment_align: 8
    .kernarg_segment_size: 352
    .language:       OpenCL C
    .language_version:
      - 2
      - 0
    .max_flat_workgroup_size: 1024
    .name:           _ZL23rocblas_syr_kernel_inc1ILb1ELi1024EfPKfPKS1_PKPfEvimT2_lT3_llT4_llli
    .private_segment_fixed_size: 0
    .sgpr_count:     30
    .sgpr_spill_count: 0
    .symbol:         _ZL23rocblas_syr_kernel_inc1ILb1ELi1024EfPKfPKS1_PKPfEvimT2_lT3_llT4_llli.kd
    .uniform_work_group_size: 1
    .uses_dynamic_stack: false
    .vgpr_count:     14
    .vgpr_spill_count: 0
    .wavefront_size: 32
  - .args:
      - .offset:         0
        .size:           4
        .value_kind:     by_value
      - .offset:         8
        .size:           8
        .value_kind:     by_value
      - .address_space:  global
        .offset:         16
        .size:           8
        .value_kind:     global_buffer
      - .offset:         24
        .size:           8
        .value_kind:     by_value
      - .address_space:  global
        .offset:         32
        .size:           8
        .value_kind:     global_buffer
      - .offset:         40
        .size:           8
        .value_kind:     by_value
      - .offset:         48
        .size:           8
        .value_kind:     by_value
      - .offset:         56
        .size:           8
        .value_kind:     by_value
      - .address_space:  global
        .offset:         64
        .size:           8
        .value_kind:     global_buffer
      - .offset:         72
        .size:           8
        .value_kind:     by_value
      - .offset:         80
        .size:           8
        .value_kind:     by_value
      - .offset:         88
        .size:           8
        .value_kind:     by_value
      - .offset:         96
        .size:           4
        .value_kind:     by_value
      - .offset:         104
        .size:           4
        .value_kind:     hidden_block_count_x
      - .offset:         108
        .size:           4
        .value_kind:     hidden_block_count_y
      - .offset:         112
        .size:           4
        .value_kind:     hidden_block_count_z
      - .offset:         116
        .size:           2
        .value_kind:     hidden_group_size_x
      - .offset:         118
        .size:           2
        .value_kind:     hidden_group_size_y
      - .offset:         120
        .size:           2
        .value_kind:     hidden_group_size_z
      - .offset:         122
        .size:           2
        .value_kind:     hidden_remainder_x
      - .offset:         124
        .size:           2
        .value_kind:     hidden_remainder_y
      - .offset:         126
        .size:           2
        .value_kind:     hidden_remainder_z
      - .offset:         144
        .size:           8
        .value_kind:     hidden_global_offset_x
      - .offset:         152
        .size:           8
        .value_kind:     hidden_global_offset_y
      - .offset:         160
        .size:           8
        .value_kind:     hidden_global_offset_z
      - .offset:         168
        .size:           2
        .value_kind:     hidden_grid_dims
    .group_segment_fixed_size: 0
    .kernarg_segment_align: 8
    .kernarg_segment_size: 360
    .language:       OpenCL C
    .language_version:
      - 2
      - 0
    .max_flat_workgroup_size: 1024
    .name:           _ZL18rocblas_syr_kernelILb1ELi1024EfPKfPKS1_PKPfEvimT2_lT3_lllT4_llli
    .private_segment_fixed_size: 0
    .sgpr_count:     38
    .sgpr_spill_count: 0
    .symbol:         _ZL18rocblas_syr_kernelILb1ELi1024EfPKfPKS1_PKPfEvimT2_lT3_lllT4_llli.kd
    .uniform_work_group_size: 1
    .uses_dynamic_stack: false
    .vgpr_count:     14
    .vgpr_spill_count: 0
    .wavefront_size: 32
  - .args:
      - .offset:         0
        .size:           4
        .value_kind:     by_value
      - .offset:         8
        .size:           8
        .value_kind:     by_value
      - .address_space:  global
        .offset:         16
        .size:           8
        .value_kind:     global_buffer
      - .offset:         24
        .size:           8
        .value_kind:     by_value
      - .address_space:  global
        .offset:         32
        .size:           8
        .value_kind:     global_buffer
      - .offset:         40
        .size:           8
        .value_kind:     by_value
      - .offset:         48
        .size:           8
        .value_kind:     by_value
      - .address_space:  global
        .offset:         56
        .size:           8
        .value_kind:     global_buffer
      - .offset:         64
        .size:           8
        .value_kind:     by_value
      - .offset:         72
        .size:           8
        .value_kind:     by_value
      - .offset:         80
        .size:           8
        .value_kind:     by_value
      - .offset:         88
        .size:           4
        .value_kind:     by_value
      - .offset:         96
        .size:           4
        .value_kind:     hidden_block_count_x
      - .offset:         100
        .size:           4
        .value_kind:     hidden_block_count_y
      - .offset:         104
        .size:           4
        .value_kind:     hidden_block_count_z
      - .offset:         108
        .size:           2
        .value_kind:     hidden_group_size_x
      - .offset:         110
        .size:           2
        .value_kind:     hidden_group_size_y
      - .offset:         112
        .size:           2
        .value_kind:     hidden_group_size_z
      - .offset:         114
        .size:           2
        .value_kind:     hidden_remainder_x
      - .offset:         116
        .size:           2
        .value_kind:     hidden_remainder_y
      - .offset:         118
        .size:           2
        .value_kind:     hidden_remainder_z
      - .offset:         136
        .size:           8
        .value_kind:     hidden_global_offset_x
      - .offset:         144
        .size:           8
        .value_kind:     hidden_global_offset_y
      - .offset:         152
        .size:           8
        .value_kind:     hidden_global_offset_z
      - .offset:         160
        .size:           2
        .value_kind:     hidden_grid_dims
    .group_segment_fixed_size: 0
    .kernarg_segment_align: 8
    .kernarg_segment_size: 352
    .language:       OpenCL C
    .language_version:
      - 2
      - 0
    .max_flat_workgroup_size: 1024
    .name:           _ZL23rocblas_syr_kernel_inc1ILb0ELi1024EfPKfPKS1_PKPfEvimT2_lT3_llT4_llli
    .private_segment_fixed_size: 0
    .sgpr_count:     32
    .sgpr_spill_count: 0
    .symbol:         _ZL23rocblas_syr_kernel_inc1ILb0ELi1024EfPKfPKS1_PKPfEvimT2_lT3_llT4_llli.kd
    .uniform_work_group_size: 1
    .uses_dynamic_stack: false
    .vgpr_count:     14
    .vgpr_spill_count: 0
    .wavefront_size: 32
  - .args:
      - .offset:         0
        .size:           4
        .value_kind:     by_value
      - .offset:         8
        .size:           8
        .value_kind:     by_value
      - .address_space:  global
        .offset:         16
        .size:           8
        .value_kind:     global_buffer
      - .offset:         24
        .size:           8
        .value_kind:     by_value
      - .address_space:  global
        .offset:         32
        .size:           8
        .value_kind:     global_buffer
      - .offset:         40
        .size:           8
        .value_kind:     by_value
      - .offset:         48
        .size:           8
        .value_kind:     by_value
      - .offset:         56
        .size:           8
        .value_kind:     by_value
      - .address_space:  global
        .offset:         64
        .size:           8
        .value_kind:     global_buffer
      - .offset:         72
        .size:           8
        .value_kind:     by_value
      - .offset:         80
        .size:           8
        .value_kind:     by_value
      - .offset:         88
        .size:           8
        .value_kind:     by_value
      - .offset:         96
        .size:           4
        .value_kind:     by_value
      - .offset:         104
        .size:           4
        .value_kind:     hidden_block_count_x
      - .offset:         108
        .size:           4
        .value_kind:     hidden_block_count_y
      - .offset:         112
        .size:           4
        .value_kind:     hidden_block_count_z
      - .offset:         116
        .size:           2
        .value_kind:     hidden_group_size_x
      - .offset:         118
        .size:           2
        .value_kind:     hidden_group_size_y
      - .offset:         120
        .size:           2
        .value_kind:     hidden_group_size_z
      - .offset:         122
        .size:           2
        .value_kind:     hidden_remainder_x
      - .offset:         124
        .size:           2
        .value_kind:     hidden_remainder_y
      - .offset:         126
        .size:           2
        .value_kind:     hidden_remainder_z
      - .offset:         144
        .size:           8
        .value_kind:     hidden_global_offset_x
      - .offset:         152
        .size:           8
        .value_kind:     hidden_global_offset_y
      - .offset:         160
        .size:           8
        .value_kind:     hidden_global_offset_z
      - .offset:         168
        .size:           2
        .value_kind:     hidden_grid_dims
    .group_segment_fixed_size: 0
    .kernarg_segment_align: 8
    .kernarg_segment_size: 360
    .language:       OpenCL C
    .language_version:
      - 2
      - 0
    .max_flat_workgroup_size: 1024
    .name:           _ZL18rocblas_syr_kernelILb0ELi1024EfPKfPKS1_PKPfEvimT2_lT3_lllT4_llli
    .private_segment_fixed_size: 0
    .sgpr_count:     38
    .sgpr_spill_count: 0
    .symbol:         _ZL18rocblas_syr_kernelILb0ELi1024EfPKfPKS1_PKPfEvimT2_lT3_lllT4_llli.kd
    .uniform_work_group_size: 1
    .uses_dynamic_stack: false
    .vgpr_count:     14
    .vgpr_spill_count: 0
    .wavefront_size: 32
  - .args:
      - .offset:         0
        .size:           4
        .value_kind:     by_value
      - .offset:         8
        .size:           8
        .value_kind:     by_value
      - .offset:         16
        .size:           4
        .value_kind:     by_value
      - .offset:         24
        .size:           8
        .value_kind:     by_value
      - .address_space:  global
        .offset:         32
        .size:           8
        .value_kind:     global_buffer
      - .offset:         40
        .size:           8
        .value_kind:     by_value
      - .offset:         48
        .size:           8
        .value_kind:     by_value
      - .address_space:  global
        .offset:         56
        .size:           8
        .value_kind:     global_buffer
      - .offset:         64
        .size:           8
        .value_kind:     by_value
      - .offset:         72
        .size:           8
        .value_kind:     by_value
      - .offset:         80
        .size:           8
        .value_kind:     by_value
      - .offset:         88
        .size:           4
        .value_kind:     by_value
      - .offset:         96
        .size:           4
        .value_kind:     hidden_block_count_x
      - .offset:         100
        .size:           4
        .value_kind:     hidden_block_count_y
      - .offset:         104
        .size:           4
        .value_kind:     hidden_block_count_z
      - .offset:         108
        .size:           2
        .value_kind:     hidden_group_size_x
      - .offset:         110
        .size:           2
        .value_kind:     hidden_group_size_y
      - .offset:         112
        .size:           2
        .value_kind:     hidden_group_size_z
      - .offset:         114
        .size:           2
        .value_kind:     hidden_remainder_x
      - .offset:         116
        .size:           2
        .value_kind:     hidden_remainder_y
      - .offset:         118
        .size:           2
        .value_kind:     hidden_remainder_z
      - .offset:         136
        .size:           8
        .value_kind:     hidden_global_offset_x
      - .offset:         144
        .size:           8
        .value_kind:     hidden_global_offset_y
      - .offset:         152
        .size:           8
        .value_kind:     hidden_global_offset_z
      - .offset:         160
        .size:           2
        .value_kind:     hidden_grid_dims
    .group_segment_fixed_size: 0
    .kernarg_segment_align: 8
    .kernarg_segment_size: 352
    .language:       OpenCL C
    .language_version:
      - 2
      - 0
    .max_flat_workgroup_size: 1024
    .name:           _ZL23rocblas_syr_kernel_inc1ILb1ELi1024EffPKPKfPKPfEvimT2_lT3_llT4_llli
    .private_segment_fixed_size: 0
    .sgpr_count:     26
    .sgpr_spill_count: 0
    .symbol:         _ZL23rocblas_syr_kernel_inc1ILb1ELi1024EffPKPKfPKPfEvimT2_lT3_llT4_llli.kd
    .uniform_work_group_size: 1
    .uses_dynamic_stack: false
    .vgpr_count:     12
    .vgpr_spill_count: 0
    .wavefront_size: 32
  - .args:
      - .offset:         0
        .size:           4
        .value_kind:     by_value
      - .offset:         8
        .size:           8
        .value_kind:     by_value
      - .offset:         16
        .size:           4
        .value_kind:     by_value
      - .offset:         24
        .size:           8
        .value_kind:     by_value
      - .address_space:  global
        .offset:         32
        .size:           8
        .value_kind:     global_buffer
      - .offset:         40
        .size:           8
        .value_kind:     by_value
      - .offset:         48
        .size:           8
        .value_kind:     by_value
      - .offset:         56
        .size:           8
        .value_kind:     by_value
      - .address_space:  global
        .offset:         64
        .size:           8
        .value_kind:     global_buffer
      - .offset:         72
        .size:           8
        .value_kind:     by_value
      - .offset:         80
        .size:           8
        .value_kind:     by_value
      - .offset:         88
        .size:           8
        .value_kind:     by_value
      - .offset:         96
        .size:           4
        .value_kind:     by_value
      - .offset:         104
        .size:           4
        .value_kind:     hidden_block_count_x
      - .offset:         108
        .size:           4
        .value_kind:     hidden_block_count_y
      - .offset:         112
        .size:           4
        .value_kind:     hidden_block_count_z
      - .offset:         116
        .size:           2
        .value_kind:     hidden_group_size_x
      - .offset:         118
        .size:           2
        .value_kind:     hidden_group_size_y
      - .offset:         120
        .size:           2
        .value_kind:     hidden_group_size_z
      - .offset:         122
        .size:           2
        .value_kind:     hidden_remainder_x
      - .offset:         124
        .size:           2
        .value_kind:     hidden_remainder_y
      - .offset:         126
        .size:           2
        .value_kind:     hidden_remainder_z
      - .offset:         144
        .size:           8
        .value_kind:     hidden_global_offset_x
      - .offset:         152
        .size:           8
        .value_kind:     hidden_global_offset_y
      - .offset:         160
        .size:           8
        .value_kind:     hidden_global_offset_z
      - .offset:         168
        .size:           2
        .value_kind:     hidden_grid_dims
    .group_segment_fixed_size: 0
    .kernarg_segment_align: 8
    .kernarg_segment_size: 360
    .language:       OpenCL C
    .language_version:
      - 2
      - 0
    .max_flat_workgroup_size: 1024
    .name:           _ZL18rocblas_syr_kernelILb1ELi1024EffPKPKfPKPfEvimT2_lT3_lllT4_llli
    .private_segment_fixed_size: 0
    .sgpr_count:     28
    .sgpr_spill_count: 0
    .symbol:         _ZL18rocblas_syr_kernelILb1ELi1024EffPKPKfPKPfEvimT2_lT3_lllT4_llli.kd
    .uniform_work_group_size: 1
    .uses_dynamic_stack: false
    .vgpr_count:     12
    .vgpr_spill_count: 0
    .wavefront_size: 32
  - .args:
      - .offset:         0
        .size:           4
        .value_kind:     by_value
      - .offset:         8
        .size:           8
        .value_kind:     by_value
      - .offset:         16
        .size:           4
        .value_kind:     by_value
      - .offset:         24
        .size:           8
        .value_kind:     by_value
      - .address_space:  global
        .offset:         32
        .size:           8
        .value_kind:     global_buffer
      - .offset:         40
        .size:           8
        .value_kind:     by_value
      - .offset:         48
        .size:           8
        .value_kind:     by_value
      - .address_space:  global
        .offset:         56
        .size:           8
        .value_kind:     global_buffer
      - .offset:         64
        .size:           8
        .value_kind:     by_value
      - .offset:         72
        .size:           8
        .value_kind:     by_value
      - .offset:         80
        .size:           8
        .value_kind:     by_value
      - .offset:         88
        .size:           4
        .value_kind:     by_value
      - .offset:         96
        .size:           4
        .value_kind:     hidden_block_count_x
      - .offset:         100
        .size:           4
        .value_kind:     hidden_block_count_y
      - .offset:         104
        .size:           4
        .value_kind:     hidden_block_count_z
      - .offset:         108
        .size:           2
        .value_kind:     hidden_group_size_x
      - .offset:         110
        .size:           2
        .value_kind:     hidden_group_size_y
      - .offset:         112
        .size:           2
        .value_kind:     hidden_group_size_z
      - .offset:         114
        .size:           2
        .value_kind:     hidden_remainder_x
      - .offset:         116
        .size:           2
        .value_kind:     hidden_remainder_y
      - .offset:         118
        .size:           2
        .value_kind:     hidden_remainder_z
      - .offset:         136
        .size:           8
        .value_kind:     hidden_global_offset_x
      - .offset:         144
        .size:           8
        .value_kind:     hidden_global_offset_y
      - .offset:         152
        .size:           8
        .value_kind:     hidden_global_offset_z
      - .offset:         160
        .size:           2
        .value_kind:     hidden_grid_dims
    .group_segment_fixed_size: 0
    .kernarg_segment_align: 8
    .kernarg_segment_size: 352
    .language:       OpenCL C
    .language_version:
      - 2
      - 0
    .max_flat_workgroup_size: 1024
    .name:           _ZL23rocblas_syr_kernel_inc1ILb0ELi1024EffPKPKfPKPfEvimT2_lT3_llT4_llli
    .private_segment_fixed_size: 0
    .sgpr_count:     30
    .sgpr_spill_count: 0
    .symbol:         _ZL23rocblas_syr_kernel_inc1ILb0ELi1024EffPKPKfPKPfEvimT2_lT3_llT4_llli.kd
    .uniform_work_group_size: 1
    .uses_dynamic_stack: false
    .vgpr_count:     12
    .vgpr_spill_count: 0
    .wavefront_size: 32
  - .args:
      - .offset:         0
        .size:           4
        .value_kind:     by_value
      - .offset:         8
        .size:           8
        .value_kind:     by_value
      - .offset:         16
        .size:           4
        .value_kind:     by_value
      - .offset:         24
        .size:           8
        .value_kind:     by_value
      - .address_space:  global
        .offset:         32
        .size:           8
        .value_kind:     global_buffer
      - .offset:         40
        .size:           8
        .value_kind:     by_value
      - .offset:         48
        .size:           8
        .value_kind:     by_value
      - .offset:         56
        .size:           8
        .value_kind:     by_value
      - .address_space:  global
        .offset:         64
        .size:           8
        .value_kind:     global_buffer
      - .offset:         72
        .size:           8
        .value_kind:     by_value
      - .offset:         80
        .size:           8
        .value_kind:     by_value
      - .offset:         88
        .size:           8
        .value_kind:     by_value
      - .offset:         96
        .size:           4
        .value_kind:     by_value
      - .offset:         104
        .size:           4
        .value_kind:     hidden_block_count_x
      - .offset:         108
        .size:           4
        .value_kind:     hidden_block_count_y
      - .offset:         112
        .size:           4
        .value_kind:     hidden_block_count_z
      - .offset:         116
        .size:           2
        .value_kind:     hidden_group_size_x
      - .offset:         118
        .size:           2
        .value_kind:     hidden_group_size_y
      - .offset:         120
        .size:           2
        .value_kind:     hidden_group_size_z
      - .offset:         122
        .size:           2
        .value_kind:     hidden_remainder_x
      - .offset:         124
        .size:           2
        .value_kind:     hidden_remainder_y
      - .offset:         126
        .size:           2
        .value_kind:     hidden_remainder_z
      - .offset:         144
        .size:           8
        .value_kind:     hidden_global_offset_x
      - .offset:         152
        .size:           8
        .value_kind:     hidden_global_offset_y
      - .offset:         160
        .size:           8
        .value_kind:     hidden_global_offset_z
      - .offset:         168
        .size:           2
        .value_kind:     hidden_grid_dims
    .group_segment_fixed_size: 0
    .kernarg_segment_align: 8
    .kernarg_segment_size: 360
    .language:       OpenCL C
    .language_version:
      - 2
      - 0
    .max_flat_workgroup_size: 1024
    .name:           _ZL18rocblas_syr_kernelILb0ELi1024EffPKPKfPKPfEvimT2_lT3_lllT4_llli
    .private_segment_fixed_size: 0
    .sgpr_count:     30
    .sgpr_spill_count: 0
    .symbol:         _ZL18rocblas_syr_kernelILb0ELi1024EffPKPKfPKPfEvimT2_lT3_lllT4_llli.kd
    .uniform_work_group_size: 1
    .uses_dynamic_stack: false
    .vgpr_count:     12
    .vgpr_spill_count: 0
    .wavefront_size: 32
  - .args:
      - .offset:         0
        .size:           4
        .value_kind:     by_value
      - .offset:         8
        .size:           8
        .value_kind:     by_value
      - .address_space:  global
        .offset:         16
        .size:           8
        .value_kind:     global_buffer
      - .offset:         24
        .size:           8
        .value_kind:     by_value
      - .address_space:  global
        .offset:         32
        .size:           8
        .value_kind:     global_buffer
      - .offset:         40
        .size:           8
        .value_kind:     by_value
      - .offset:         48
        .size:           8
        .value_kind:     by_value
      - .address_space:  global
        .offset:         56
        .size:           8
        .value_kind:     global_buffer
      - .offset:         64
        .size:           8
        .value_kind:     by_value
      - .offset:         72
        .size:           8
        .value_kind:     by_value
      - .offset:         80
        .size:           8
        .value_kind:     by_value
      - .offset:         88
        .size:           4
        .value_kind:     by_value
      - .offset:         96
        .size:           4
        .value_kind:     hidden_block_count_x
      - .offset:         100
        .size:           4
        .value_kind:     hidden_block_count_y
      - .offset:         104
        .size:           4
        .value_kind:     hidden_block_count_z
      - .offset:         108
        .size:           2
        .value_kind:     hidden_group_size_x
      - .offset:         110
        .size:           2
        .value_kind:     hidden_group_size_y
      - .offset:         112
        .size:           2
        .value_kind:     hidden_group_size_z
      - .offset:         114
        .size:           2
        .value_kind:     hidden_remainder_x
      - .offset:         116
        .size:           2
        .value_kind:     hidden_remainder_y
      - .offset:         118
        .size:           2
        .value_kind:     hidden_remainder_z
      - .offset:         136
        .size:           8
        .value_kind:     hidden_global_offset_x
      - .offset:         144
        .size:           8
        .value_kind:     hidden_global_offset_y
      - .offset:         152
        .size:           8
        .value_kind:     hidden_global_offset_z
      - .offset:         160
        .size:           2
        .value_kind:     hidden_grid_dims
    .group_segment_fixed_size: 0
    .kernarg_segment_align: 8
    .kernarg_segment_size: 352
    .language:       OpenCL C
    .language_version:
      - 2
      - 0
    .max_flat_workgroup_size: 1024
    .name:           _ZL23rocblas_syr_kernel_inc1ILb1ELi1024EdPKdPKS1_PKPdEvimT2_lT3_llT4_llli
    .private_segment_fixed_size: 0
    .sgpr_count:     30
    .sgpr_spill_count: 0
    .symbol:         _ZL23rocblas_syr_kernel_inc1ILb1ELi1024EdPKdPKS1_PKPdEvimT2_lT3_llT4_llli.kd
    .uniform_work_group_size: 1
    .uses_dynamic_stack: false
    .vgpr_count:     14
    .vgpr_spill_count: 0
    .wavefront_size: 32
  - .args:
      - .offset:         0
        .size:           4
        .value_kind:     by_value
      - .offset:         8
        .size:           8
        .value_kind:     by_value
      - .address_space:  global
        .offset:         16
        .size:           8
        .value_kind:     global_buffer
      - .offset:         24
        .size:           8
        .value_kind:     by_value
      - .address_space:  global
        .offset:         32
        .size:           8
        .value_kind:     global_buffer
      - .offset:         40
        .size:           8
        .value_kind:     by_value
      - .offset:         48
        .size:           8
        .value_kind:     by_value
      - .offset:         56
        .size:           8
        .value_kind:     by_value
      - .address_space:  global
        .offset:         64
        .size:           8
        .value_kind:     global_buffer
      - .offset:         72
        .size:           8
        .value_kind:     by_value
      - .offset:         80
        .size:           8
        .value_kind:     by_value
      - .offset:         88
        .size:           8
        .value_kind:     by_value
      - .offset:         96
        .size:           4
        .value_kind:     by_value
      - .offset:         104
        .size:           4
        .value_kind:     hidden_block_count_x
      - .offset:         108
        .size:           4
        .value_kind:     hidden_block_count_y
      - .offset:         112
        .size:           4
        .value_kind:     hidden_block_count_z
      - .offset:         116
        .size:           2
        .value_kind:     hidden_group_size_x
      - .offset:         118
        .size:           2
        .value_kind:     hidden_group_size_y
      - .offset:         120
        .size:           2
        .value_kind:     hidden_group_size_z
      - .offset:         122
        .size:           2
        .value_kind:     hidden_remainder_x
      - .offset:         124
        .size:           2
        .value_kind:     hidden_remainder_y
      - .offset:         126
        .size:           2
        .value_kind:     hidden_remainder_z
      - .offset:         144
        .size:           8
        .value_kind:     hidden_global_offset_x
      - .offset:         152
        .size:           8
        .value_kind:     hidden_global_offset_y
      - .offset:         160
        .size:           8
        .value_kind:     hidden_global_offset_z
      - .offset:         168
        .size:           2
        .value_kind:     hidden_grid_dims
    .group_segment_fixed_size: 0
    .kernarg_segment_align: 8
    .kernarg_segment_size: 360
    .language:       OpenCL C
    .language_version:
      - 2
      - 0
    .max_flat_workgroup_size: 1024
    .name:           _ZL18rocblas_syr_kernelILb1ELi1024EdPKdPKS1_PKPdEvimT2_lT3_lllT4_llli
    .private_segment_fixed_size: 0
    .sgpr_count:     32
    .sgpr_spill_count: 0
    .symbol:         _ZL18rocblas_syr_kernelILb1ELi1024EdPKdPKS1_PKPdEvimT2_lT3_lllT4_llli.kd
    .uniform_work_group_size: 1
    .uses_dynamic_stack: false
    .vgpr_count:     14
    .vgpr_spill_count: 0
    .wavefront_size: 32
  - .args:
      - .offset:         0
        .size:           4
        .value_kind:     by_value
      - .offset:         8
        .size:           8
        .value_kind:     by_value
      - .address_space:  global
        .offset:         16
        .size:           8
        .value_kind:     global_buffer
      - .offset:         24
        .size:           8
        .value_kind:     by_value
      - .address_space:  global
        .offset:         32
        .size:           8
        .value_kind:     global_buffer
      - .offset:         40
        .size:           8
        .value_kind:     by_value
      - .offset:         48
        .size:           8
        .value_kind:     by_value
      - .address_space:  global
        .offset:         56
        .size:           8
        .value_kind:     global_buffer
      - .offset:         64
        .size:           8
        .value_kind:     by_value
      - .offset:         72
        .size:           8
        .value_kind:     by_value
      - .offset:         80
        .size:           8
        .value_kind:     by_value
      - .offset:         88
        .size:           4
        .value_kind:     by_value
      - .offset:         96
        .size:           4
        .value_kind:     hidden_block_count_x
      - .offset:         100
        .size:           4
        .value_kind:     hidden_block_count_y
      - .offset:         104
        .size:           4
        .value_kind:     hidden_block_count_z
      - .offset:         108
        .size:           2
        .value_kind:     hidden_group_size_x
      - .offset:         110
        .size:           2
        .value_kind:     hidden_group_size_y
      - .offset:         112
        .size:           2
        .value_kind:     hidden_group_size_z
      - .offset:         114
        .size:           2
        .value_kind:     hidden_remainder_x
      - .offset:         116
        .size:           2
        .value_kind:     hidden_remainder_y
      - .offset:         118
        .size:           2
        .value_kind:     hidden_remainder_z
      - .offset:         136
        .size:           8
        .value_kind:     hidden_global_offset_x
      - .offset:         144
        .size:           8
        .value_kind:     hidden_global_offset_y
      - .offset:         152
        .size:           8
        .value_kind:     hidden_global_offset_z
      - .offset:         160
        .size:           2
        .value_kind:     hidden_grid_dims
    .group_segment_fixed_size: 0
    .kernarg_segment_align: 8
    .kernarg_segment_size: 352
    .language:       OpenCL C
    .language_version:
      - 2
      - 0
    .max_flat_workgroup_size: 1024
    .name:           _ZL23rocblas_syr_kernel_inc1ILb0ELi1024EdPKdPKS1_PKPdEvimT2_lT3_llT4_llli
    .private_segment_fixed_size: 0
    .sgpr_count:     32
    .sgpr_spill_count: 0
    .symbol:         _ZL23rocblas_syr_kernel_inc1ILb0ELi1024EdPKdPKS1_PKPdEvimT2_lT3_llT4_llli.kd
    .uniform_work_group_size: 1
    .uses_dynamic_stack: false
    .vgpr_count:     14
    .vgpr_spill_count: 0
    .wavefront_size: 32
  - .args:
      - .offset:         0
        .size:           4
        .value_kind:     by_value
      - .offset:         8
        .size:           8
        .value_kind:     by_value
      - .address_space:  global
        .offset:         16
        .size:           8
        .value_kind:     global_buffer
      - .offset:         24
        .size:           8
        .value_kind:     by_value
      - .address_space:  global
        .offset:         32
        .size:           8
        .value_kind:     global_buffer
      - .offset:         40
        .size:           8
        .value_kind:     by_value
      - .offset:         48
        .size:           8
        .value_kind:     by_value
      - .offset:         56
        .size:           8
        .value_kind:     by_value
      - .address_space:  global
        .offset:         64
        .size:           8
        .value_kind:     global_buffer
      - .offset:         72
        .size:           8
        .value_kind:     by_value
      - .offset:         80
        .size:           8
        .value_kind:     by_value
      - .offset:         88
        .size:           8
        .value_kind:     by_value
      - .offset:         96
        .size:           4
        .value_kind:     by_value
      - .offset:         104
        .size:           4
        .value_kind:     hidden_block_count_x
      - .offset:         108
        .size:           4
        .value_kind:     hidden_block_count_y
      - .offset:         112
        .size:           4
        .value_kind:     hidden_block_count_z
      - .offset:         116
        .size:           2
        .value_kind:     hidden_group_size_x
      - .offset:         118
        .size:           2
        .value_kind:     hidden_group_size_y
      - .offset:         120
        .size:           2
        .value_kind:     hidden_group_size_z
      - .offset:         122
        .size:           2
        .value_kind:     hidden_remainder_x
      - .offset:         124
        .size:           2
        .value_kind:     hidden_remainder_y
      - .offset:         126
        .size:           2
        .value_kind:     hidden_remainder_z
      - .offset:         144
        .size:           8
        .value_kind:     hidden_global_offset_x
      - .offset:         152
        .size:           8
        .value_kind:     hidden_global_offset_y
      - .offset:         160
        .size:           8
        .value_kind:     hidden_global_offset_z
      - .offset:         168
        .size:           2
        .value_kind:     hidden_grid_dims
    .group_segment_fixed_size: 0
    .kernarg_segment_align: 8
    .kernarg_segment_size: 360
    .language:       OpenCL C
    .language_version:
      - 2
      - 0
    .max_flat_workgroup_size: 1024
    .name:           _ZL18rocblas_syr_kernelILb0ELi1024EdPKdPKS1_PKPdEvimT2_lT3_lllT4_llli
    .private_segment_fixed_size: 0
    .sgpr_count:     32
    .sgpr_spill_count: 0
    .symbol:         _ZL18rocblas_syr_kernelILb0ELi1024EdPKdPKS1_PKPdEvimT2_lT3_lllT4_llli.kd
    .uniform_work_group_size: 1
    .uses_dynamic_stack: false
    .vgpr_count:     14
    .vgpr_spill_count: 0
    .wavefront_size: 32
  - .args:
      - .offset:         0
        .size:           4
        .value_kind:     by_value
      - .offset:         8
        .size:           8
        .value_kind:     by_value
      - .offset:         16
        .size:           8
        .value_kind:     by_value
      - .offset:         24
        .size:           8
        .value_kind:     by_value
      - .address_space:  global
        .offset:         32
        .size:           8
        .value_kind:     global_buffer
      - .offset:         40
        .size:           8
        .value_kind:     by_value
      - .offset:         48
        .size:           8
        .value_kind:     by_value
      - .address_space:  global
        .offset:         56
        .size:           8
        .value_kind:     global_buffer
      - .offset:         64
        .size:           8
        .value_kind:     by_value
      - .offset:         72
        .size:           8
        .value_kind:     by_value
      - .offset:         80
        .size:           8
        .value_kind:     by_value
      - .offset:         88
        .size:           4
        .value_kind:     by_value
      - .offset:         96
        .size:           4
        .value_kind:     hidden_block_count_x
      - .offset:         100
        .size:           4
        .value_kind:     hidden_block_count_y
      - .offset:         104
        .size:           4
        .value_kind:     hidden_block_count_z
      - .offset:         108
        .size:           2
        .value_kind:     hidden_group_size_x
      - .offset:         110
        .size:           2
        .value_kind:     hidden_group_size_y
      - .offset:         112
        .size:           2
        .value_kind:     hidden_group_size_z
      - .offset:         114
        .size:           2
        .value_kind:     hidden_remainder_x
      - .offset:         116
        .size:           2
        .value_kind:     hidden_remainder_y
      - .offset:         118
        .size:           2
        .value_kind:     hidden_remainder_z
      - .offset:         136
        .size:           8
        .value_kind:     hidden_global_offset_x
      - .offset:         144
        .size:           8
        .value_kind:     hidden_global_offset_y
      - .offset:         152
        .size:           8
        .value_kind:     hidden_global_offset_z
      - .offset:         160
        .size:           2
        .value_kind:     hidden_grid_dims
    .group_segment_fixed_size: 0
    .kernarg_segment_align: 8
    .kernarg_segment_size: 352
    .language:       OpenCL C
    .language_version:
      - 2
      - 0
    .max_flat_workgroup_size: 1024
    .name:           _ZL23rocblas_syr_kernel_inc1ILb1ELi1024EddPKPKdPKPdEvimT2_lT3_llT4_llli
    .private_segment_fixed_size: 0
    .sgpr_count:     28
    .sgpr_spill_count: 0
    .symbol:         _ZL23rocblas_syr_kernel_inc1ILb1ELi1024EddPKPKdPKPdEvimT2_lT3_llT4_llli.kd
    .uniform_work_group_size: 1
    .uses_dynamic_stack: false
    .vgpr_count:     12
    .vgpr_spill_count: 0
    .wavefront_size: 32
  - .args:
      - .offset:         0
        .size:           4
        .value_kind:     by_value
      - .offset:         8
        .size:           8
        .value_kind:     by_value
      - .offset:         16
        .size:           8
        .value_kind:     by_value
      - .offset:         24
        .size:           8
        .value_kind:     by_value
      - .address_space:  global
        .offset:         32
        .size:           8
        .value_kind:     global_buffer
      - .offset:         40
        .size:           8
        .value_kind:     by_value
      - .offset:         48
        .size:           8
        .value_kind:     by_value
      - .offset:         56
        .size:           8
        .value_kind:     by_value
      - .address_space:  global
        .offset:         64
        .size:           8
        .value_kind:     global_buffer
      - .offset:         72
        .size:           8
        .value_kind:     by_value
      - .offset:         80
        .size:           8
        .value_kind:     by_value
      - .offset:         88
        .size:           8
        .value_kind:     by_value
      - .offset:         96
        .size:           4
        .value_kind:     by_value
      - .offset:         104
        .size:           4
        .value_kind:     hidden_block_count_x
      - .offset:         108
        .size:           4
        .value_kind:     hidden_block_count_y
      - .offset:         112
        .size:           4
        .value_kind:     hidden_block_count_z
      - .offset:         116
        .size:           2
        .value_kind:     hidden_group_size_x
      - .offset:         118
        .size:           2
        .value_kind:     hidden_group_size_y
      - .offset:         120
        .size:           2
        .value_kind:     hidden_group_size_z
      - .offset:         122
        .size:           2
        .value_kind:     hidden_remainder_x
      - .offset:         124
        .size:           2
        .value_kind:     hidden_remainder_y
      - .offset:         126
        .size:           2
        .value_kind:     hidden_remainder_z
      - .offset:         144
        .size:           8
        .value_kind:     hidden_global_offset_x
      - .offset:         152
        .size:           8
        .value_kind:     hidden_global_offset_y
      - .offset:         160
        .size:           8
        .value_kind:     hidden_global_offset_z
      - .offset:         168
        .size:           2
        .value_kind:     hidden_grid_dims
    .group_segment_fixed_size: 0
    .kernarg_segment_align: 8
    .kernarg_segment_size: 360
    .language:       OpenCL C
    .language_version:
      - 2
      - 0
    .max_flat_workgroup_size: 1024
    .name:           _ZL18rocblas_syr_kernelILb1ELi1024EddPKPKdPKPdEvimT2_lT3_lllT4_llli
    .private_segment_fixed_size: 0
    .sgpr_count:     30
    .sgpr_spill_count: 0
    .symbol:         _ZL18rocblas_syr_kernelILb1ELi1024EddPKPKdPKPdEvimT2_lT3_lllT4_llli.kd
    .uniform_work_group_size: 1
    .uses_dynamic_stack: false
    .vgpr_count:     12
    .vgpr_spill_count: 0
    .wavefront_size: 32
  - .args:
      - .offset:         0
        .size:           4
        .value_kind:     by_value
      - .offset:         8
        .size:           8
        .value_kind:     by_value
      - .offset:         16
        .size:           8
        .value_kind:     by_value
      - .offset:         24
        .size:           8
        .value_kind:     by_value
      - .address_space:  global
        .offset:         32
        .size:           8
        .value_kind:     global_buffer
      - .offset:         40
        .size:           8
        .value_kind:     by_value
      - .offset:         48
        .size:           8
        .value_kind:     by_value
      - .address_space:  global
        .offset:         56
        .size:           8
        .value_kind:     global_buffer
      - .offset:         64
        .size:           8
        .value_kind:     by_value
      - .offset:         72
        .size:           8
        .value_kind:     by_value
      - .offset:         80
        .size:           8
        .value_kind:     by_value
      - .offset:         88
        .size:           4
        .value_kind:     by_value
      - .offset:         96
        .size:           4
        .value_kind:     hidden_block_count_x
      - .offset:         100
        .size:           4
        .value_kind:     hidden_block_count_y
      - .offset:         104
        .size:           4
        .value_kind:     hidden_block_count_z
      - .offset:         108
        .size:           2
        .value_kind:     hidden_group_size_x
      - .offset:         110
        .size:           2
        .value_kind:     hidden_group_size_y
      - .offset:         112
        .size:           2
        .value_kind:     hidden_group_size_z
      - .offset:         114
        .size:           2
        .value_kind:     hidden_remainder_x
      - .offset:         116
        .size:           2
        .value_kind:     hidden_remainder_y
      - .offset:         118
        .size:           2
        .value_kind:     hidden_remainder_z
      - .offset:         136
        .size:           8
        .value_kind:     hidden_global_offset_x
      - .offset:         144
        .size:           8
        .value_kind:     hidden_global_offset_y
      - .offset:         152
        .size:           8
        .value_kind:     hidden_global_offset_z
      - .offset:         160
        .size:           2
        .value_kind:     hidden_grid_dims
    .group_segment_fixed_size: 0
    .kernarg_segment_align: 8
    .kernarg_segment_size: 352
    .language:       OpenCL C
    .language_version:
      - 2
      - 0
    .max_flat_workgroup_size: 1024
    .name:           _ZL23rocblas_syr_kernel_inc1ILb0ELi1024EddPKPKdPKPdEvimT2_lT3_llT4_llli
    .private_segment_fixed_size: 0
    .sgpr_count:     30
    .sgpr_spill_count: 0
    .symbol:         _ZL23rocblas_syr_kernel_inc1ILb0ELi1024EddPKPKdPKPdEvimT2_lT3_llT4_llli.kd
    .uniform_work_group_size: 1
    .uses_dynamic_stack: false
    .vgpr_count:     12
    .vgpr_spill_count: 0
    .wavefront_size: 32
  - .args:
      - .offset:         0
        .size:           4
        .value_kind:     by_value
      - .offset:         8
        .size:           8
        .value_kind:     by_value
      - .offset:         16
        .size:           8
        .value_kind:     by_value
      - .offset:         24
        .size:           8
        .value_kind:     by_value
      - .address_space:  global
        .offset:         32
        .size:           8
        .value_kind:     global_buffer
      - .offset:         40
        .size:           8
        .value_kind:     by_value
      - .offset:         48
        .size:           8
        .value_kind:     by_value
      - .offset:         56
        .size:           8
        .value_kind:     by_value
      - .address_space:  global
        .offset:         64
        .size:           8
        .value_kind:     global_buffer
      - .offset:         72
        .size:           8
        .value_kind:     by_value
      - .offset:         80
        .size:           8
        .value_kind:     by_value
      - .offset:         88
        .size:           8
        .value_kind:     by_value
      - .offset:         96
        .size:           4
        .value_kind:     by_value
      - .offset:         104
        .size:           4
        .value_kind:     hidden_block_count_x
      - .offset:         108
        .size:           4
        .value_kind:     hidden_block_count_y
      - .offset:         112
        .size:           4
        .value_kind:     hidden_block_count_z
      - .offset:         116
        .size:           2
        .value_kind:     hidden_group_size_x
      - .offset:         118
        .size:           2
        .value_kind:     hidden_group_size_y
      - .offset:         120
        .size:           2
        .value_kind:     hidden_group_size_z
      - .offset:         122
        .size:           2
        .value_kind:     hidden_remainder_x
      - .offset:         124
        .size:           2
        .value_kind:     hidden_remainder_y
      - .offset:         126
        .size:           2
        .value_kind:     hidden_remainder_z
      - .offset:         144
        .size:           8
        .value_kind:     hidden_global_offset_x
      - .offset:         152
        .size:           8
        .value_kind:     hidden_global_offset_y
      - .offset:         160
        .size:           8
        .value_kind:     hidden_global_offset_z
      - .offset:         168
        .size:           2
        .value_kind:     hidden_grid_dims
    .group_segment_fixed_size: 0
    .kernarg_segment_align: 8
    .kernarg_segment_size: 360
    .language:       OpenCL C
    .language_version:
      - 2
      - 0
    .max_flat_workgroup_size: 1024
    .name:           _ZL18rocblas_syr_kernelILb0ELi1024EddPKPKdPKPdEvimT2_lT3_lllT4_llli
    .private_segment_fixed_size: 0
    .sgpr_count:     30
    .sgpr_spill_count: 0
    .symbol:         _ZL18rocblas_syr_kernelILb0ELi1024EddPKPKdPKPdEvimT2_lT3_lllT4_llli.kd
    .uniform_work_group_size: 1
    .uses_dynamic_stack: false
    .vgpr_count:     12
    .vgpr_spill_count: 0
    .wavefront_size: 32
  - .args:
      - .offset:         0
        .size:           4
        .value_kind:     by_value
      - .offset:         8
        .size:           8
        .value_kind:     by_value
      - .address_space:  global
        .offset:         16
        .size:           8
        .value_kind:     global_buffer
      - .offset:         24
        .size:           8
        .value_kind:     by_value
      - .address_space:  global
        .offset:         32
        .size:           8
        .value_kind:     global_buffer
      - .offset:         40
        .size:           8
        .value_kind:     by_value
      - .offset:         48
        .size:           8
        .value_kind:     by_value
      - .address_space:  global
        .offset:         56
        .size:           8
        .value_kind:     global_buffer
      - .offset:         64
        .size:           8
        .value_kind:     by_value
      - .offset:         72
        .size:           8
        .value_kind:     by_value
      - .offset:         80
        .size:           8
        .value_kind:     by_value
      - .offset:         88
        .size:           4
        .value_kind:     by_value
      - .offset:         96
        .size:           4
        .value_kind:     hidden_block_count_x
      - .offset:         100
        .size:           4
        .value_kind:     hidden_block_count_y
      - .offset:         104
        .size:           4
        .value_kind:     hidden_block_count_z
      - .offset:         108
        .size:           2
        .value_kind:     hidden_group_size_x
      - .offset:         110
        .size:           2
        .value_kind:     hidden_group_size_y
      - .offset:         112
        .size:           2
        .value_kind:     hidden_group_size_z
      - .offset:         114
        .size:           2
        .value_kind:     hidden_remainder_x
      - .offset:         116
        .size:           2
        .value_kind:     hidden_remainder_y
      - .offset:         118
        .size:           2
        .value_kind:     hidden_remainder_z
      - .offset:         136
        .size:           8
        .value_kind:     hidden_global_offset_x
      - .offset:         144
        .size:           8
        .value_kind:     hidden_global_offset_y
      - .offset:         152
        .size:           8
        .value_kind:     hidden_global_offset_z
      - .offset:         160
        .size:           2
        .value_kind:     hidden_grid_dims
    .group_segment_fixed_size: 0
    .kernarg_segment_align: 8
    .kernarg_segment_size: 352
    .language:       OpenCL C
    .language_version:
      - 2
      - 0
    .max_flat_workgroup_size: 1024
    .name:           _ZL23rocblas_syr_kernel_inc1ILb1ELi1024E19rocblas_complex_numIfEPKS1_PKS3_PKPS1_EvimT2_lT3_llT4_llli
    .private_segment_fixed_size: 0
    .sgpr_count:     30
    .sgpr_spill_count: 0
    .symbol:         _ZL23rocblas_syr_kernel_inc1ILb1ELi1024E19rocblas_complex_numIfEPKS1_PKS3_PKPS1_EvimT2_lT3_llT4_llli.kd
    .uniform_work_group_size: 1
    .uses_dynamic_stack: false
    .vgpr_count:     18
    .vgpr_spill_count: 0
    .wavefront_size: 32
  - .args:
      - .offset:         0
        .size:           4
        .value_kind:     by_value
      - .offset:         8
        .size:           8
        .value_kind:     by_value
      - .address_space:  global
        .offset:         16
        .size:           8
        .value_kind:     global_buffer
      - .offset:         24
        .size:           8
        .value_kind:     by_value
      - .address_space:  global
        .offset:         32
        .size:           8
        .value_kind:     global_buffer
      - .offset:         40
        .size:           8
        .value_kind:     by_value
      - .offset:         48
        .size:           8
        .value_kind:     by_value
      - .offset:         56
        .size:           8
        .value_kind:     by_value
      - .address_space:  global
        .offset:         64
        .size:           8
        .value_kind:     global_buffer
      - .offset:         72
        .size:           8
        .value_kind:     by_value
      - .offset:         80
        .size:           8
        .value_kind:     by_value
      - .offset:         88
        .size:           8
        .value_kind:     by_value
      - .offset:         96
        .size:           4
        .value_kind:     by_value
      - .offset:         104
        .size:           4
        .value_kind:     hidden_block_count_x
      - .offset:         108
        .size:           4
        .value_kind:     hidden_block_count_y
      - .offset:         112
        .size:           4
        .value_kind:     hidden_block_count_z
      - .offset:         116
        .size:           2
        .value_kind:     hidden_group_size_x
      - .offset:         118
        .size:           2
        .value_kind:     hidden_group_size_y
      - .offset:         120
        .size:           2
        .value_kind:     hidden_group_size_z
      - .offset:         122
        .size:           2
        .value_kind:     hidden_remainder_x
      - .offset:         124
        .size:           2
        .value_kind:     hidden_remainder_y
      - .offset:         126
        .size:           2
        .value_kind:     hidden_remainder_z
      - .offset:         144
        .size:           8
        .value_kind:     hidden_global_offset_x
      - .offset:         152
        .size:           8
        .value_kind:     hidden_global_offset_y
      - .offset:         160
        .size:           8
        .value_kind:     hidden_global_offset_z
      - .offset:         168
        .size:           2
        .value_kind:     hidden_grid_dims
    .group_segment_fixed_size: 0
    .kernarg_segment_align: 8
    .kernarg_segment_size: 360
    .language:       OpenCL C
    .language_version:
      - 2
      - 0
    .max_flat_workgroup_size: 1024
    .name:           _ZL18rocblas_syr_kernelILb1ELi1024E19rocblas_complex_numIfEPKS1_PKS3_PKPS1_EvimT2_lT3_lllT4_llli
    .private_segment_fixed_size: 0
    .sgpr_count:     32
    .sgpr_spill_count: 0
    .symbol:         _ZL18rocblas_syr_kernelILb1ELi1024E19rocblas_complex_numIfEPKS1_PKS3_PKPS1_EvimT2_lT3_lllT4_llli.kd
    .uniform_work_group_size: 1
    .uses_dynamic_stack: false
    .vgpr_count:     18
    .vgpr_spill_count: 0
    .wavefront_size: 32
  - .args:
      - .offset:         0
        .size:           4
        .value_kind:     by_value
      - .offset:         8
        .size:           8
        .value_kind:     by_value
      - .address_space:  global
        .offset:         16
        .size:           8
        .value_kind:     global_buffer
      - .offset:         24
        .size:           8
        .value_kind:     by_value
      - .address_space:  global
        .offset:         32
        .size:           8
        .value_kind:     global_buffer
      - .offset:         40
        .size:           8
        .value_kind:     by_value
      - .offset:         48
        .size:           8
        .value_kind:     by_value
      - .address_space:  global
        .offset:         56
        .size:           8
        .value_kind:     global_buffer
      - .offset:         64
        .size:           8
        .value_kind:     by_value
      - .offset:         72
        .size:           8
        .value_kind:     by_value
      - .offset:         80
        .size:           8
        .value_kind:     by_value
      - .offset:         88
        .size:           4
        .value_kind:     by_value
      - .offset:         96
        .size:           4
        .value_kind:     hidden_block_count_x
      - .offset:         100
        .size:           4
        .value_kind:     hidden_block_count_y
      - .offset:         104
        .size:           4
        .value_kind:     hidden_block_count_z
      - .offset:         108
        .size:           2
        .value_kind:     hidden_group_size_x
      - .offset:         110
        .size:           2
        .value_kind:     hidden_group_size_y
      - .offset:         112
        .size:           2
        .value_kind:     hidden_group_size_z
      - .offset:         114
        .size:           2
        .value_kind:     hidden_remainder_x
      - .offset:         116
        .size:           2
        .value_kind:     hidden_remainder_y
      - .offset:         118
        .size:           2
        .value_kind:     hidden_remainder_z
      - .offset:         136
        .size:           8
        .value_kind:     hidden_global_offset_x
      - .offset:         144
        .size:           8
        .value_kind:     hidden_global_offset_y
      - .offset:         152
        .size:           8
        .value_kind:     hidden_global_offset_z
      - .offset:         160
        .size:           2
        .value_kind:     hidden_grid_dims
    .group_segment_fixed_size: 0
    .kernarg_segment_align: 8
    .kernarg_segment_size: 352
    .language:       OpenCL C
    .language_version:
      - 2
      - 0
    .max_flat_workgroup_size: 1024
    .name:           _ZL23rocblas_syr_kernel_inc1ILb0ELi1024E19rocblas_complex_numIfEPKS1_PKS3_PKPS1_EvimT2_lT3_llT4_llli
    .private_segment_fixed_size: 0
    .sgpr_count:     32
    .sgpr_spill_count: 0
    .symbol:         _ZL23rocblas_syr_kernel_inc1ILb0ELi1024E19rocblas_complex_numIfEPKS1_PKS3_PKPS1_EvimT2_lT3_llT4_llli.kd
    .uniform_work_group_size: 1
    .uses_dynamic_stack: false
    .vgpr_count:     18
    .vgpr_spill_count: 0
    .wavefront_size: 32
  - .args:
      - .offset:         0
        .size:           4
        .value_kind:     by_value
      - .offset:         8
        .size:           8
        .value_kind:     by_value
      - .address_space:  global
        .offset:         16
        .size:           8
        .value_kind:     global_buffer
      - .offset:         24
        .size:           8
        .value_kind:     by_value
      - .address_space:  global
        .offset:         32
        .size:           8
        .value_kind:     global_buffer
      - .offset:         40
        .size:           8
        .value_kind:     by_value
      - .offset:         48
        .size:           8
        .value_kind:     by_value
      - .offset:         56
        .size:           8
        .value_kind:     by_value
      - .address_space:  global
        .offset:         64
        .size:           8
        .value_kind:     global_buffer
      - .offset:         72
        .size:           8
        .value_kind:     by_value
      - .offset:         80
        .size:           8
        .value_kind:     by_value
      - .offset:         88
        .size:           8
        .value_kind:     by_value
      - .offset:         96
        .size:           4
        .value_kind:     by_value
      - .offset:         104
        .size:           4
        .value_kind:     hidden_block_count_x
      - .offset:         108
        .size:           4
        .value_kind:     hidden_block_count_y
      - .offset:         112
        .size:           4
        .value_kind:     hidden_block_count_z
      - .offset:         116
        .size:           2
        .value_kind:     hidden_group_size_x
      - .offset:         118
        .size:           2
        .value_kind:     hidden_group_size_y
      - .offset:         120
        .size:           2
        .value_kind:     hidden_group_size_z
      - .offset:         122
        .size:           2
        .value_kind:     hidden_remainder_x
      - .offset:         124
        .size:           2
        .value_kind:     hidden_remainder_y
      - .offset:         126
        .size:           2
        .value_kind:     hidden_remainder_z
      - .offset:         144
        .size:           8
        .value_kind:     hidden_global_offset_x
      - .offset:         152
        .size:           8
        .value_kind:     hidden_global_offset_y
      - .offset:         160
        .size:           8
        .value_kind:     hidden_global_offset_z
      - .offset:         168
        .size:           2
        .value_kind:     hidden_grid_dims
    .group_segment_fixed_size: 0
    .kernarg_segment_align: 8
    .kernarg_segment_size: 360
    .language:       OpenCL C
    .language_version:
      - 2
      - 0
    .max_flat_workgroup_size: 1024
    .name:           _ZL18rocblas_syr_kernelILb0ELi1024E19rocblas_complex_numIfEPKS1_PKS3_PKPS1_EvimT2_lT3_lllT4_llli
    .private_segment_fixed_size: 0
    .sgpr_count:     32
    .sgpr_spill_count: 0
    .symbol:         _ZL18rocblas_syr_kernelILb0ELi1024E19rocblas_complex_numIfEPKS1_PKS3_PKPS1_EvimT2_lT3_lllT4_llli.kd
    .uniform_work_group_size: 1
    .uses_dynamic_stack: false
    .vgpr_count:     18
    .vgpr_spill_count: 0
    .wavefront_size: 32
  - .args:
      - .offset:         0
        .size:           4
        .value_kind:     by_value
      - .offset:         8
        .size:           8
        .value_kind:     by_value
      - .offset:         16
        .size:           8
        .value_kind:     by_value
      - .offset:         24
        .size:           8
        .value_kind:     by_value
      - .address_space:  global
        .offset:         32
        .size:           8
        .value_kind:     global_buffer
      - .offset:         40
        .size:           8
        .value_kind:     by_value
      - .offset:         48
        .size:           8
        .value_kind:     by_value
      - .address_space:  global
        .offset:         56
        .size:           8
        .value_kind:     global_buffer
      - .offset:         64
        .size:           8
        .value_kind:     by_value
      - .offset:         72
        .size:           8
        .value_kind:     by_value
      - .offset:         80
        .size:           8
        .value_kind:     by_value
      - .offset:         88
        .size:           4
        .value_kind:     by_value
      - .offset:         96
        .size:           4
        .value_kind:     hidden_block_count_x
      - .offset:         100
        .size:           4
        .value_kind:     hidden_block_count_y
      - .offset:         104
        .size:           4
        .value_kind:     hidden_block_count_z
      - .offset:         108
        .size:           2
        .value_kind:     hidden_group_size_x
      - .offset:         110
        .size:           2
        .value_kind:     hidden_group_size_y
      - .offset:         112
        .size:           2
        .value_kind:     hidden_group_size_z
      - .offset:         114
        .size:           2
        .value_kind:     hidden_remainder_x
      - .offset:         116
        .size:           2
        .value_kind:     hidden_remainder_y
      - .offset:         118
        .size:           2
        .value_kind:     hidden_remainder_z
      - .offset:         136
        .size:           8
        .value_kind:     hidden_global_offset_x
      - .offset:         144
        .size:           8
        .value_kind:     hidden_global_offset_y
      - .offset:         152
        .size:           8
        .value_kind:     hidden_global_offset_z
      - .offset:         160
        .size:           2
        .value_kind:     hidden_grid_dims
    .group_segment_fixed_size: 0
    .kernarg_segment_align: 8
    .kernarg_segment_size: 352
    .language:       OpenCL C
    .language_version:
      - 2
      - 0
    .max_flat_workgroup_size: 1024
    .name:           _ZL23rocblas_syr_kernel_inc1ILb1ELi1024E19rocblas_complex_numIfES1_PKPKS1_PKPS1_EvimT2_lT3_llT4_llli
    .private_segment_fixed_size: 0
    .sgpr_count:     28
    .sgpr_spill_count: 0
    .symbol:         _ZL23rocblas_syr_kernel_inc1ILb1ELi1024E19rocblas_complex_numIfES1_PKPKS1_PKPS1_EvimT2_lT3_llT4_llli.kd
    .uniform_work_group_size: 1
    .uses_dynamic_stack: false
    .vgpr_count:     16
    .vgpr_spill_count: 0
    .wavefront_size: 32
  - .args:
      - .offset:         0
        .size:           4
        .value_kind:     by_value
      - .offset:         8
        .size:           8
        .value_kind:     by_value
      - .offset:         16
        .size:           8
        .value_kind:     by_value
      - .offset:         24
        .size:           8
        .value_kind:     by_value
      - .address_space:  global
        .offset:         32
        .size:           8
        .value_kind:     global_buffer
      - .offset:         40
        .size:           8
        .value_kind:     by_value
      - .offset:         48
        .size:           8
        .value_kind:     by_value
      - .offset:         56
        .size:           8
        .value_kind:     by_value
      - .address_space:  global
        .offset:         64
        .size:           8
        .value_kind:     global_buffer
      - .offset:         72
        .size:           8
        .value_kind:     by_value
      - .offset:         80
        .size:           8
        .value_kind:     by_value
      - .offset:         88
        .size:           8
        .value_kind:     by_value
      - .offset:         96
        .size:           4
        .value_kind:     by_value
      - .offset:         104
        .size:           4
        .value_kind:     hidden_block_count_x
      - .offset:         108
        .size:           4
        .value_kind:     hidden_block_count_y
      - .offset:         112
        .size:           4
        .value_kind:     hidden_block_count_z
      - .offset:         116
        .size:           2
        .value_kind:     hidden_group_size_x
      - .offset:         118
        .size:           2
        .value_kind:     hidden_group_size_y
      - .offset:         120
        .size:           2
        .value_kind:     hidden_group_size_z
      - .offset:         122
        .size:           2
        .value_kind:     hidden_remainder_x
      - .offset:         124
        .size:           2
        .value_kind:     hidden_remainder_y
      - .offset:         126
        .size:           2
        .value_kind:     hidden_remainder_z
      - .offset:         144
        .size:           8
        .value_kind:     hidden_global_offset_x
      - .offset:         152
        .size:           8
        .value_kind:     hidden_global_offset_y
      - .offset:         160
        .size:           8
        .value_kind:     hidden_global_offset_z
      - .offset:         168
        .size:           2
        .value_kind:     hidden_grid_dims
    .group_segment_fixed_size: 0
    .kernarg_segment_align: 8
    .kernarg_segment_size: 360
    .language:       OpenCL C
    .language_version:
      - 2
      - 0
    .max_flat_workgroup_size: 1024
    .name:           _ZL18rocblas_syr_kernelILb1ELi1024E19rocblas_complex_numIfES1_PKPKS1_PKPS1_EvimT2_lT3_lllT4_llli
    .private_segment_fixed_size: 0
    .sgpr_count:     28
    .sgpr_spill_count: 0
    .symbol:         _ZL18rocblas_syr_kernelILb1ELi1024E19rocblas_complex_numIfES1_PKPKS1_PKPS1_EvimT2_lT3_lllT4_llli.kd
    .uniform_work_group_size: 1
    .uses_dynamic_stack: false
    .vgpr_count:     16
    .vgpr_spill_count: 0
    .wavefront_size: 32
  - .args:
      - .offset:         0
        .size:           4
        .value_kind:     by_value
      - .offset:         8
        .size:           8
        .value_kind:     by_value
      - .offset:         16
        .size:           8
        .value_kind:     by_value
      - .offset:         24
        .size:           8
        .value_kind:     by_value
      - .address_space:  global
        .offset:         32
        .size:           8
        .value_kind:     global_buffer
      - .offset:         40
        .size:           8
        .value_kind:     by_value
      - .offset:         48
        .size:           8
        .value_kind:     by_value
      - .address_space:  global
        .offset:         56
        .size:           8
        .value_kind:     global_buffer
      - .offset:         64
        .size:           8
        .value_kind:     by_value
      - .offset:         72
        .size:           8
        .value_kind:     by_value
      - .offset:         80
        .size:           8
        .value_kind:     by_value
      - .offset:         88
        .size:           4
        .value_kind:     by_value
      - .offset:         96
        .size:           4
        .value_kind:     hidden_block_count_x
      - .offset:         100
        .size:           4
        .value_kind:     hidden_block_count_y
      - .offset:         104
        .size:           4
        .value_kind:     hidden_block_count_z
      - .offset:         108
        .size:           2
        .value_kind:     hidden_group_size_x
      - .offset:         110
        .size:           2
        .value_kind:     hidden_group_size_y
      - .offset:         112
        .size:           2
        .value_kind:     hidden_group_size_z
      - .offset:         114
        .size:           2
        .value_kind:     hidden_remainder_x
      - .offset:         116
        .size:           2
        .value_kind:     hidden_remainder_y
      - .offset:         118
        .size:           2
        .value_kind:     hidden_remainder_z
      - .offset:         136
        .size:           8
        .value_kind:     hidden_global_offset_x
      - .offset:         144
        .size:           8
        .value_kind:     hidden_global_offset_y
      - .offset:         152
        .size:           8
        .value_kind:     hidden_global_offset_z
      - .offset:         160
        .size:           2
        .value_kind:     hidden_grid_dims
    .group_segment_fixed_size: 0
    .kernarg_segment_align: 8
    .kernarg_segment_size: 352
    .language:       OpenCL C
    .language_version:
      - 2
      - 0
    .max_flat_workgroup_size: 1024
    .name:           _ZL23rocblas_syr_kernel_inc1ILb0ELi1024E19rocblas_complex_numIfES1_PKPKS1_PKPS1_EvimT2_lT3_llT4_llli
    .private_segment_fixed_size: 0
    .sgpr_count:     30
    .sgpr_spill_count: 0
    .symbol:         _ZL23rocblas_syr_kernel_inc1ILb0ELi1024E19rocblas_complex_numIfES1_PKPKS1_PKPS1_EvimT2_lT3_llT4_llli.kd
    .uniform_work_group_size: 1
    .uses_dynamic_stack: false
    .vgpr_count:     16
    .vgpr_spill_count: 0
    .wavefront_size: 32
  - .args:
      - .offset:         0
        .size:           4
        .value_kind:     by_value
      - .offset:         8
        .size:           8
        .value_kind:     by_value
      - .offset:         16
        .size:           8
        .value_kind:     by_value
      - .offset:         24
        .size:           8
        .value_kind:     by_value
      - .address_space:  global
        .offset:         32
        .size:           8
        .value_kind:     global_buffer
      - .offset:         40
        .size:           8
        .value_kind:     by_value
      - .offset:         48
        .size:           8
        .value_kind:     by_value
      - .offset:         56
        .size:           8
        .value_kind:     by_value
      - .address_space:  global
        .offset:         64
        .size:           8
        .value_kind:     global_buffer
      - .offset:         72
        .size:           8
        .value_kind:     by_value
      - .offset:         80
        .size:           8
        .value_kind:     by_value
      - .offset:         88
        .size:           8
        .value_kind:     by_value
      - .offset:         96
        .size:           4
        .value_kind:     by_value
      - .offset:         104
        .size:           4
        .value_kind:     hidden_block_count_x
      - .offset:         108
        .size:           4
        .value_kind:     hidden_block_count_y
      - .offset:         112
        .size:           4
        .value_kind:     hidden_block_count_z
      - .offset:         116
        .size:           2
        .value_kind:     hidden_group_size_x
      - .offset:         118
        .size:           2
        .value_kind:     hidden_group_size_y
      - .offset:         120
        .size:           2
        .value_kind:     hidden_group_size_z
      - .offset:         122
        .size:           2
        .value_kind:     hidden_remainder_x
      - .offset:         124
        .size:           2
        .value_kind:     hidden_remainder_y
      - .offset:         126
        .size:           2
        .value_kind:     hidden_remainder_z
      - .offset:         144
        .size:           8
        .value_kind:     hidden_global_offset_x
      - .offset:         152
        .size:           8
        .value_kind:     hidden_global_offset_y
      - .offset:         160
        .size:           8
        .value_kind:     hidden_global_offset_z
      - .offset:         168
        .size:           2
        .value_kind:     hidden_grid_dims
    .group_segment_fixed_size: 0
    .kernarg_segment_align: 8
    .kernarg_segment_size: 360
    .language:       OpenCL C
    .language_version:
      - 2
      - 0
    .max_flat_workgroup_size: 1024
    .name:           _ZL18rocblas_syr_kernelILb0ELi1024E19rocblas_complex_numIfES1_PKPKS1_PKPS1_EvimT2_lT3_lllT4_llli
    .private_segment_fixed_size: 0
    .sgpr_count:     29
    .sgpr_spill_count: 0
    .symbol:         _ZL18rocblas_syr_kernelILb0ELi1024E19rocblas_complex_numIfES1_PKPKS1_PKPS1_EvimT2_lT3_lllT4_llli.kd
    .uniform_work_group_size: 1
    .uses_dynamic_stack: false
    .vgpr_count:     16
    .vgpr_spill_count: 0
    .wavefront_size: 32
  - .args:
      - .offset:         0
        .size:           4
        .value_kind:     by_value
      - .offset:         8
        .size:           8
        .value_kind:     by_value
      - .address_space:  global
        .offset:         16
        .size:           8
        .value_kind:     global_buffer
      - .offset:         24
        .size:           8
        .value_kind:     by_value
      - .address_space:  global
        .offset:         32
        .size:           8
        .value_kind:     global_buffer
      - .offset:         40
        .size:           8
        .value_kind:     by_value
      - .offset:         48
        .size:           8
        .value_kind:     by_value
      - .address_space:  global
        .offset:         56
        .size:           8
        .value_kind:     global_buffer
      - .offset:         64
        .size:           8
        .value_kind:     by_value
      - .offset:         72
        .size:           8
        .value_kind:     by_value
      - .offset:         80
        .size:           8
        .value_kind:     by_value
      - .offset:         88
        .size:           4
        .value_kind:     by_value
      - .offset:         96
        .size:           4
        .value_kind:     hidden_block_count_x
      - .offset:         100
        .size:           4
        .value_kind:     hidden_block_count_y
      - .offset:         104
        .size:           4
        .value_kind:     hidden_block_count_z
      - .offset:         108
        .size:           2
        .value_kind:     hidden_group_size_x
      - .offset:         110
        .size:           2
        .value_kind:     hidden_group_size_y
      - .offset:         112
        .size:           2
        .value_kind:     hidden_group_size_z
      - .offset:         114
        .size:           2
        .value_kind:     hidden_remainder_x
      - .offset:         116
        .size:           2
        .value_kind:     hidden_remainder_y
      - .offset:         118
        .size:           2
        .value_kind:     hidden_remainder_z
      - .offset:         136
        .size:           8
        .value_kind:     hidden_global_offset_x
      - .offset:         144
        .size:           8
        .value_kind:     hidden_global_offset_y
      - .offset:         152
        .size:           8
        .value_kind:     hidden_global_offset_z
      - .offset:         160
        .size:           2
        .value_kind:     hidden_grid_dims
    .group_segment_fixed_size: 0
    .kernarg_segment_align: 8
    .kernarg_segment_size: 352
    .language:       OpenCL C
    .language_version:
      - 2
      - 0
    .max_flat_workgroup_size: 1024
    .name:           _ZL23rocblas_syr_kernel_inc1ILb1ELi1024E19rocblas_complex_numIdEPKS1_PKS3_PKPS1_EvimT2_lT3_llT4_llli
    .private_segment_fixed_size: 0
    .sgpr_count:     30
    .sgpr_spill_count: 0
    .symbol:         _ZL23rocblas_syr_kernel_inc1ILb1ELi1024E19rocblas_complex_numIdEPKS1_PKS3_PKPS1_EvimT2_lT3_llT4_llli.kd
    .uniform_work_group_size: 1
    .uses_dynamic_stack: false
    .vgpr_count:     22
    .vgpr_spill_count: 0
    .wavefront_size: 32
  - .args:
      - .offset:         0
        .size:           4
        .value_kind:     by_value
      - .offset:         8
        .size:           8
        .value_kind:     by_value
      - .address_space:  global
        .offset:         16
        .size:           8
        .value_kind:     global_buffer
      - .offset:         24
        .size:           8
        .value_kind:     by_value
      - .address_space:  global
        .offset:         32
        .size:           8
        .value_kind:     global_buffer
      - .offset:         40
        .size:           8
        .value_kind:     by_value
      - .offset:         48
        .size:           8
        .value_kind:     by_value
      - .offset:         56
        .size:           8
        .value_kind:     by_value
      - .address_space:  global
        .offset:         64
        .size:           8
        .value_kind:     global_buffer
      - .offset:         72
        .size:           8
        .value_kind:     by_value
      - .offset:         80
        .size:           8
        .value_kind:     by_value
      - .offset:         88
        .size:           8
        .value_kind:     by_value
      - .offset:         96
        .size:           4
        .value_kind:     by_value
      - .offset:         104
        .size:           4
        .value_kind:     hidden_block_count_x
      - .offset:         108
        .size:           4
        .value_kind:     hidden_block_count_y
      - .offset:         112
        .size:           4
        .value_kind:     hidden_block_count_z
      - .offset:         116
        .size:           2
        .value_kind:     hidden_group_size_x
      - .offset:         118
        .size:           2
        .value_kind:     hidden_group_size_y
      - .offset:         120
        .size:           2
        .value_kind:     hidden_group_size_z
      - .offset:         122
        .size:           2
        .value_kind:     hidden_remainder_x
      - .offset:         124
        .size:           2
        .value_kind:     hidden_remainder_y
      - .offset:         126
        .size:           2
        .value_kind:     hidden_remainder_z
      - .offset:         144
        .size:           8
        .value_kind:     hidden_global_offset_x
      - .offset:         152
        .size:           8
        .value_kind:     hidden_global_offset_y
      - .offset:         160
        .size:           8
        .value_kind:     hidden_global_offset_z
      - .offset:         168
        .size:           2
        .value_kind:     hidden_grid_dims
    .group_segment_fixed_size: 0
    .kernarg_segment_align: 8
    .kernarg_segment_size: 360
    .language:       OpenCL C
    .language_version:
      - 2
      - 0
    .max_flat_workgroup_size: 1024
    .name:           _ZL18rocblas_syr_kernelILb1ELi1024E19rocblas_complex_numIdEPKS1_PKS3_PKPS1_EvimT2_lT3_lllT4_llli
    .private_segment_fixed_size: 0
    .sgpr_count:     32
    .sgpr_spill_count: 0
    .symbol:         _ZL18rocblas_syr_kernelILb1ELi1024E19rocblas_complex_numIdEPKS1_PKS3_PKPS1_EvimT2_lT3_lllT4_llli.kd
    .uniform_work_group_size: 1
    .uses_dynamic_stack: false
    .vgpr_count:     22
    .vgpr_spill_count: 0
    .wavefront_size: 32
  - .args:
      - .offset:         0
        .size:           4
        .value_kind:     by_value
      - .offset:         8
        .size:           8
        .value_kind:     by_value
      - .address_space:  global
        .offset:         16
        .size:           8
        .value_kind:     global_buffer
      - .offset:         24
        .size:           8
        .value_kind:     by_value
      - .address_space:  global
        .offset:         32
        .size:           8
        .value_kind:     global_buffer
      - .offset:         40
        .size:           8
        .value_kind:     by_value
      - .offset:         48
        .size:           8
        .value_kind:     by_value
      - .address_space:  global
        .offset:         56
        .size:           8
        .value_kind:     global_buffer
      - .offset:         64
        .size:           8
        .value_kind:     by_value
      - .offset:         72
        .size:           8
        .value_kind:     by_value
      - .offset:         80
        .size:           8
        .value_kind:     by_value
      - .offset:         88
        .size:           4
        .value_kind:     by_value
      - .offset:         96
        .size:           4
        .value_kind:     hidden_block_count_x
      - .offset:         100
        .size:           4
        .value_kind:     hidden_block_count_y
      - .offset:         104
        .size:           4
        .value_kind:     hidden_block_count_z
      - .offset:         108
        .size:           2
        .value_kind:     hidden_group_size_x
      - .offset:         110
        .size:           2
        .value_kind:     hidden_group_size_y
      - .offset:         112
        .size:           2
        .value_kind:     hidden_group_size_z
      - .offset:         114
        .size:           2
        .value_kind:     hidden_remainder_x
      - .offset:         116
        .size:           2
        .value_kind:     hidden_remainder_y
      - .offset:         118
        .size:           2
        .value_kind:     hidden_remainder_z
      - .offset:         136
        .size:           8
        .value_kind:     hidden_global_offset_x
      - .offset:         144
        .size:           8
        .value_kind:     hidden_global_offset_y
      - .offset:         152
        .size:           8
        .value_kind:     hidden_global_offset_z
      - .offset:         160
        .size:           2
        .value_kind:     hidden_grid_dims
    .group_segment_fixed_size: 0
    .kernarg_segment_align: 8
    .kernarg_segment_size: 352
    .language:       OpenCL C
    .language_version:
      - 2
      - 0
    .max_flat_workgroup_size: 1024
    .name:           _ZL23rocblas_syr_kernel_inc1ILb0ELi1024E19rocblas_complex_numIdEPKS1_PKS3_PKPS1_EvimT2_lT3_llT4_llli
    .private_segment_fixed_size: 0
    .sgpr_count:     32
    .sgpr_spill_count: 0
    .symbol:         _ZL23rocblas_syr_kernel_inc1ILb0ELi1024E19rocblas_complex_numIdEPKS1_PKS3_PKPS1_EvimT2_lT3_llT4_llli.kd
    .uniform_work_group_size: 1
    .uses_dynamic_stack: false
    .vgpr_count:     22
    .vgpr_spill_count: 0
    .wavefront_size: 32
  - .args:
      - .offset:         0
        .size:           4
        .value_kind:     by_value
      - .offset:         8
        .size:           8
        .value_kind:     by_value
      - .address_space:  global
        .offset:         16
        .size:           8
        .value_kind:     global_buffer
      - .offset:         24
        .size:           8
        .value_kind:     by_value
      - .address_space:  global
        .offset:         32
        .size:           8
        .value_kind:     global_buffer
      - .offset:         40
        .size:           8
        .value_kind:     by_value
      - .offset:         48
        .size:           8
        .value_kind:     by_value
      - .offset:         56
        .size:           8
        .value_kind:     by_value
      - .address_space:  global
        .offset:         64
        .size:           8
        .value_kind:     global_buffer
      - .offset:         72
        .size:           8
        .value_kind:     by_value
      - .offset:         80
        .size:           8
        .value_kind:     by_value
      - .offset:         88
        .size:           8
        .value_kind:     by_value
      - .offset:         96
        .size:           4
        .value_kind:     by_value
      - .offset:         104
        .size:           4
        .value_kind:     hidden_block_count_x
      - .offset:         108
        .size:           4
        .value_kind:     hidden_block_count_y
      - .offset:         112
        .size:           4
        .value_kind:     hidden_block_count_z
      - .offset:         116
        .size:           2
        .value_kind:     hidden_group_size_x
      - .offset:         118
        .size:           2
        .value_kind:     hidden_group_size_y
      - .offset:         120
        .size:           2
        .value_kind:     hidden_group_size_z
      - .offset:         122
        .size:           2
        .value_kind:     hidden_remainder_x
      - .offset:         124
        .size:           2
        .value_kind:     hidden_remainder_y
      - .offset:         126
        .size:           2
        .value_kind:     hidden_remainder_z
      - .offset:         144
        .size:           8
        .value_kind:     hidden_global_offset_x
      - .offset:         152
        .size:           8
        .value_kind:     hidden_global_offset_y
      - .offset:         160
        .size:           8
        .value_kind:     hidden_global_offset_z
      - .offset:         168
        .size:           2
        .value_kind:     hidden_grid_dims
    .group_segment_fixed_size: 0
    .kernarg_segment_align: 8
    .kernarg_segment_size: 360
    .language:       OpenCL C
    .language_version:
      - 2
      - 0
    .max_flat_workgroup_size: 1024
    .name:           _ZL18rocblas_syr_kernelILb0ELi1024E19rocblas_complex_numIdEPKS1_PKS3_PKPS1_EvimT2_lT3_lllT4_llli
    .private_segment_fixed_size: 0
    .sgpr_count:     32
    .sgpr_spill_count: 0
    .symbol:         _ZL18rocblas_syr_kernelILb0ELi1024E19rocblas_complex_numIdEPKS1_PKS3_PKPS1_EvimT2_lT3_lllT4_llli.kd
    .uniform_work_group_size: 1
    .uses_dynamic_stack: false
    .vgpr_count:     22
    .vgpr_spill_count: 0
    .wavefront_size: 32
  - .args:
      - .offset:         0
        .size:           4
        .value_kind:     by_value
      - .offset:         8
        .size:           8
        .value_kind:     by_value
      - .offset:         16
        .size:           16
        .value_kind:     by_value
      - .offset:         32
        .size:           8
        .value_kind:     by_value
      - .address_space:  global
        .offset:         40
        .size:           8
        .value_kind:     global_buffer
      - .offset:         48
        .size:           8
        .value_kind:     by_value
      - .offset:         56
        .size:           8
        .value_kind:     by_value
      - .address_space:  global
        .offset:         64
        .size:           8
        .value_kind:     global_buffer
      - .offset:         72
        .size:           8
        .value_kind:     by_value
      - .offset:         80
        .size:           8
        .value_kind:     by_value
      - .offset:         88
        .size:           8
        .value_kind:     by_value
      - .offset:         96
        .size:           4
        .value_kind:     by_value
      - .offset:         104
        .size:           4
        .value_kind:     hidden_block_count_x
      - .offset:         108
        .size:           4
        .value_kind:     hidden_block_count_y
      - .offset:         112
        .size:           4
        .value_kind:     hidden_block_count_z
      - .offset:         116
        .size:           2
        .value_kind:     hidden_group_size_x
      - .offset:         118
        .size:           2
        .value_kind:     hidden_group_size_y
      - .offset:         120
        .size:           2
        .value_kind:     hidden_group_size_z
      - .offset:         122
        .size:           2
        .value_kind:     hidden_remainder_x
      - .offset:         124
        .size:           2
        .value_kind:     hidden_remainder_y
      - .offset:         126
        .size:           2
        .value_kind:     hidden_remainder_z
      - .offset:         144
        .size:           8
        .value_kind:     hidden_global_offset_x
      - .offset:         152
        .size:           8
        .value_kind:     hidden_global_offset_y
      - .offset:         160
        .size:           8
        .value_kind:     hidden_global_offset_z
      - .offset:         168
        .size:           2
        .value_kind:     hidden_grid_dims
    .group_segment_fixed_size: 0
    .kernarg_segment_align: 8
    .kernarg_segment_size: 360
    .language:       OpenCL C
    .language_version:
      - 2
      - 0
    .max_flat_workgroup_size: 1024
    .name:           _ZL23rocblas_syr_kernel_inc1ILb1ELi1024E19rocblas_complex_numIdES1_PKPKS1_PKPS1_EvimT2_lT3_llT4_llli
    .private_segment_fixed_size: 0
    .sgpr_count:     28
    .sgpr_spill_count: 0
    .symbol:         _ZL23rocblas_syr_kernel_inc1ILb1ELi1024E19rocblas_complex_numIdES1_PKPKS1_PKPS1_EvimT2_lT3_llT4_llli.kd
    .uniform_work_group_size: 1
    .uses_dynamic_stack: false
    .vgpr_count:     18
    .vgpr_spill_count: 0
    .wavefront_size: 32
  - .args:
      - .offset:         0
        .size:           4
        .value_kind:     by_value
      - .offset:         8
        .size:           8
        .value_kind:     by_value
      - .offset:         16
        .size:           16
        .value_kind:     by_value
      - .offset:         32
        .size:           8
        .value_kind:     by_value
      - .address_space:  global
        .offset:         40
        .size:           8
        .value_kind:     global_buffer
      - .offset:         48
        .size:           8
        .value_kind:     by_value
      - .offset:         56
        .size:           8
        .value_kind:     by_value
      - .offset:         64
        .size:           8
        .value_kind:     by_value
      - .address_space:  global
        .offset:         72
        .size:           8
        .value_kind:     global_buffer
      - .offset:         80
        .size:           8
        .value_kind:     by_value
      - .offset:         88
        .size:           8
        .value_kind:     by_value
      - .offset:         96
        .size:           8
        .value_kind:     by_value
      - .offset:         104
        .size:           4
        .value_kind:     by_value
      - .offset:         112
        .size:           4
        .value_kind:     hidden_block_count_x
      - .offset:         116
        .size:           4
        .value_kind:     hidden_block_count_y
      - .offset:         120
        .size:           4
        .value_kind:     hidden_block_count_z
      - .offset:         124
        .size:           2
        .value_kind:     hidden_group_size_x
      - .offset:         126
        .size:           2
        .value_kind:     hidden_group_size_y
      - .offset:         128
        .size:           2
        .value_kind:     hidden_group_size_z
      - .offset:         130
        .size:           2
        .value_kind:     hidden_remainder_x
      - .offset:         132
        .size:           2
        .value_kind:     hidden_remainder_y
      - .offset:         134
        .size:           2
        .value_kind:     hidden_remainder_z
      - .offset:         152
        .size:           8
        .value_kind:     hidden_global_offset_x
      - .offset:         160
        .size:           8
        .value_kind:     hidden_global_offset_y
      - .offset:         168
        .size:           8
        .value_kind:     hidden_global_offset_z
      - .offset:         176
        .size:           2
        .value_kind:     hidden_grid_dims
    .group_segment_fixed_size: 0
    .kernarg_segment_align: 8
    .kernarg_segment_size: 368
    .language:       OpenCL C
    .language_version:
      - 2
      - 0
    .max_flat_workgroup_size: 1024
    .name:           _ZL18rocblas_syr_kernelILb1ELi1024E19rocblas_complex_numIdES1_PKPKS1_PKPS1_EvimT2_lT3_lllT4_llli
    .private_segment_fixed_size: 0
    .sgpr_count:     30
    .sgpr_spill_count: 0
    .symbol:         _ZL18rocblas_syr_kernelILb1ELi1024E19rocblas_complex_numIdES1_PKPKS1_PKPS1_EvimT2_lT3_lllT4_llli.kd
    .uniform_work_group_size: 1
    .uses_dynamic_stack: false
    .vgpr_count:     18
    .vgpr_spill_count: 0
    .wavefront_size: 32
  - .args:
      - .offset:         0
        .size:           4
        .value_kind:     by_value
      - .offset:         8
        .size:           8
        .value_kind:     by_value
      - .offset:         16
        .size:           16
        .value_kind:     by_value
      - .offset:         32
        .size:           8
        .value_kind:     by_value
      - .address_space:  global
        .offset:         40
        .size:           8
        .value_kind:     global_buffer
      - .offset:         48
        .size:           8
        .value_kind:     by_value
      - .offset:         56
        .size:           8
        .value_kind:     by_value
      - .address_space:  global
        .offset:         64
        .size:           8
        .value_kind:     global_buffer
      - .offset:         72
        .size:           8
        .value_kind:     by_value
      - .offset:         80
        .size:           8
        .value_kind:     by_value
      - .offset:         88
        .size:           8
        .value_kind:     by_value
      - .offset:         96
        .size:           4
        .value_kind:     by_value
      - .offset:         104
        .size:           4
        .value_kind:     hidden_block_count_x
      - .offset:         108
        .size:           4
        .value_kind:     hidden_block_count_y
      - .offset:         112
        .size:           4
        .value_kind:     hidden_block_count_z
      - .offset:         116
        .size:           2
        .value_kind:     hidden_group_size_x
      - .offset:         118
        .size:           2
        .value_kind:     hidden_group_size_y
      - .offset:         120
        .size:           2
        .value_kind:     hidden_group_size_z
      - .offset:         122
        .size:           2
        .value_kind:     hidden_remainder_x
      - .offset:         124
        .size:           2
        .value_kind:     hidden_remainder_y
      - .offset:         126
        .size:           2
        .value_kind:     hidden_remainder_z
      - .offset:         144
        .size:           8
        .value_kind:     hidden_global_offset_x
      - .offset:         152
        .size:           8
        .value_kind:     hidden_global_offset_y
      - .offset:         160
        .size:           8
        .value_kind:     hidden_global_offset_z
      - .offset:         168
        .size:           2
        .value_kind:     hidden_grid_dims
    .group_segment_fixed_size: 0
    .kernarg_segment_align: 8
    .kernarg_segment_size: 360
    .language:       OpenCL C
    .language_version:
      - 2
      - 0
    .max_flat_workgroup_size: 1024
    .name:           _ZL23rocblas_syr_kernel_inc1ILb0ELi1024E19rocblas_complex_numIdES1_PKPKS1_PKPS1_EvimT2_lT3_llT4_llli
    .private_segment_fixed_size: 0
    .sgpr_count:     30
    .sgpr_spill_count: 0
    .symbol:         _ZL23rocblas_syr_kernel_inc1ILb0ELi1024E19rocblas_complex_numIdES1_PKPKS1_PKPS1_EvimT2_lT3_llT4_llli.kd
    .uniform_work_group_size: 1
    .uses_dynamic_stack: false
    .vgpr_count:     18
    .vgpr_spill_count: 0
    .wavefront_size: 32
  - .args:
      - .offset:         0
        .size:           4
        .value_kind:     by_value
      - .offset:         8
        .size:           8
        .value_kind:     by_value
      - .offset:         16
        .size:           16
        .value_kind:     by_value
      - .offset:         32
        .size:           8
        .value_kind:     by_value
      - .address_space:  global
        .offset:         40
        .size:           8
        .value_kind:     global_buffer
      - .offset:         48
        .size:           8
        .value_kind:     by_value
      - .offset:         56
        .size:           8
        .value_kind:     by_value
      - .offset:         64
        .size:           8
        .value_kind:     by_value
      - .address_space:  global
        .offset:         72
        .size:           8
        .value_kind:     global_buffer
      - .offset:         80
        .size:           8
        .value_kind:     by_value
      - .offset:         88
        .size:           8
        .value_kind:     by_value
      - .offset:         96
        .size:           8
        .value_kind:     by_value
      - .offset:         104
        .size:           4
        .value_kind:     by_value
      - .offset:         112
        .size:           4
        .value_kind:     hidden_block_count_x
      - .offset:         116
        .size:           4
        .value_kind:     hidden_block_count_y
      - .offset:         120
        .size:           4
        .value_kind:     hidden_block_count_z
      - .offset:         124
        .size:           2
        .value_kind:     hidden_group_size_x
      - .offset:         126
        .size:           2
        .value_kind:     hidden_group_size_y
      - .offset:         128
        .size:           2
        .value_kind:     hidden_group_size_z
      - .offset:         130
        .size:           2
        .value_kind:     hidden_remainder_x
      - .offset:         132
        .size:           2
        .value_kind:     hidden_remainder_y
      - .offset:         134
        .size:           2
        .value_kind:     hidden_remainder_z
      - .offset:         152
        .size:           8
        .value_kind:     hidden_global_offset_x
      - .offset:         160
        .size:           8
        .value_kind:     hidden_global_offset_y
      - .offset:         168
        .size:           8
        .value_kind:     hidden_global_offset_z
      - .offset:         176
        .size:           2
        .value_kind:     hidden_grid_dims
    .group_segment_fixed_size: 0
    .kernarg_segment_align: 8
    .kernarg_segment_size: 368
    .language:       OpenCL C
    .language_version:
      - 2
      - 0
    .max_flat_workgroup_size: 1024
    .name:           _ZL18rocblas_syr_kernelILb0ELi1024E19rocblas_complex_numIdES1_PKPKS1_PKPS1_EvimT2_lT3_lllT4_llli
    .private_segment_fixed_size: 0
    .sgpr_count:     30
    .sgpr_spill_count: 0
    .symbol:         _ZL18rocblas_syr_kernelILb0ELi1024E19rocblas_complex_numIdES1_PKPKS1_PKPS1_EvimT2_lT3_lllT4_llli.kd
    .uniform_work_group_size: 1
    .uses_dynamic_stack: false
    .vgpr_count:     18
    .vgpr_spill_count: 0
    .wavefront_size: 32
amdhsa.target:   amdgcn-amd-amdhsa--gfx1250
amdhsa.version:
  - 1
  - 2
...

	.end_amdgpu_metadata
